;; amdgpu-corpus repo=ROCm/rocFFT kind=compiled arch=gfx906 opt=O3
	.text
	.amdgcn_target "amdgcn-amd-amdhsa--gfx906"
	.amdhsa_code_object_version 6
	.protected	bluestein_single_fwd_len91_dim1_dp_op_CI_CI ; -- Begin function bluestein_single_fwd_len91_dim1_dp_op_CI_CI
	.globl	bluestein_single_fwd_len91_dim1_dp_op_CI_CI
	.p2align	8
	.type	bluestein_single_fwd_len91_dim1_dp_op_CI_CI,@function
bluestein_single_fwd_len91_dim1_dp_op_CI_CI: ; @bluestein_single_fwd_len91_dim1_dp_op_CI_CI
; %bb.0:
	v_mul_u32_u24_e32 v1, 0x13b2, v0
	s_mov_b64 s[46:47], s[2:3]
	s_load_dwordx4 s[16:19], s[4:5], 0x28
	v_lshrrev_b32_e32 v1, 16, v1
	s_mov_b64 s[44:45], s[0:1]
	v_mad_u64_u32 v[128:129], s[0:1], s6, 19, v[1:2]
	v_mov_b32_e32 v129, 0
	s_add_u32 s44, s44, s7
	s_waitcnt lgkmcnt(0)
	v_cmp_gt_u64_e32 vcc, s[16:17], v[128:129]
	s_addc_u32 s45, s45, 0
	s_and_saveexec_b64 s[0:1], vcc
	s_cbranch_execz .LBB0_10
; %bb.1:
	s_load_dwordx4 s[0:3], s[4:5], 0x18
	s_load_dwordx4 s[12:15], s[4:5], 0x0
	v_mul_lo_u16_e32 v1, 13, v1
	v_sub_u16_e32 v199, v0, v1
	v_lshlrev_b32_e32 v157, 4, v199
	s_waitcnt lgkmcnt(0)
	s_load_dwordx4 s[8:11], s[0:1], 0x0
	v_mov_b32_e32 v84, s13
                                        ; implicit-def: $vgpr108_vgpr109
                                        ; implicit-def: $vgpr112_vgpr113
                                        ; implicit-def: $vgpr116_vgpr117
                                        ; implicit-def: $vgpr120_vgpr121
                                        ; implicit-def: $vgpr124_vgpr125
	s_waitcnt lgkmcnt(0)
	v_mad_u64_u32 v[0:1], s[0:1], s10, v128, 0
	v_mad_u64_u32 v[2:3], s[0:1], s8, v199, 0
	;; [unrolled: 1-line block ×4, first 2 shown]
	v_mov_b32_e32 v1, v4
	v_lshlrev_b64 v[0:1], 4, v[0:1]
	v_mov_b32_e32 v6, s19
	v_mov_b32_e32 v3, v5
	v_add_co_u32_e32 v4, vcc, s18, v0
	v_addc_co_u32_e32 v5, vcc, v6, v1, vcc
	v_lshlrev_b64 v[0:1], 4, v[2:3]
	s_mul_i32 s0, s9, 0xd0
	v_add_co_u32_e32 v0, vcc, v4, v0
	s_mul_hi_u32 s1, s8, 0xd0
	v_addc_co_u32_e32 v1, vcc, v5, v1, vcc
	s_add_i32 s0, s1, s0
	s_mul_i32 s1, s8, 0xd0
	global_load_dwordx4 v[28:31], v[0:1], off
	v_mov_b32_e32 v2, s0
	v_add_co_u32_e32 v0, vcc, s1, v0
	v_addc_co_u32_e32 v1, vcc, v1, v2, vcc
	v_mov_b32_e32 v3, s0
	v_add_co_u32_e32 v2, vcc, s1, v0
	v_addc_co_u32_e32 v3, vcc, v1, v3, vcc
	global_load_dwordx4 v[24:27], v157, s[12:13]
	global_load_dwordx4 v[12:15], v157, s[12:13] offset:208
	global_load_dwordx4 v[32:35], v[0:1], off
	global_load_dwordx4 v[36:39], v[2:3], off
	v_mov_b32_e32 v1, s0
	v_add_co_u32_e32 v0, vcc, s1, v2
	v_addc_co_u32_e32 v1, vcc, v3, v1, vcc
	v_mov_b32_e32 v3, s0
	v_add_co_u32_e32 v2, vcc, s1, v0
	v_addc_co_u32_e32 v3, vcc, v1, v3, vcc
	global_load_dwordx4 v[16:19], v157, s[12:13] offset:416
	global_load_dwordx4 v[4:7], v157, s[12:13] offset:624
	global_load_dwordx4 v[40:43], v[0:1], off
	global_load_dwordx4 v[44:47], v[2:3], off
	v_mov_b32_e32 v0, s0
	v_add_co_u32_e32 v8, vcc, s1, v2
	v_addc_co_u32_e32 v9, vcc, v3, v0, vcc
	global_load_dwordx4 v[48:51], v[8:9], off
	global_load_dwordx4 v[20:23], v157, s[12:13] offset:832
	global_load_dwordx4 v[0:3], v157, s[12:13] offset:1040
	v_mov_b32_e32 v10, s0
	v_add_co_u32_e32 v56, vcc, s1, v8
	v_addc_co_u32_e32 v57, vcc, v9, v10, vcc
	global_load_dwordx4 v[8:11], v157, s[12:13] offset:1248
	global_load_dwordx4 v[52:55], v[56:57], off
	s_mov_b32 s0, 0xaf286bcb
	v_mul_hi_u32 v56, v128, s0
	s_load_dwordx2 s[6:7], s[4:5], 0x38
	s_load_dwordx4 s[8:11], s[2:3], 0x0
	s_mov_b32 s0, 0x37e14327
	s_mov_b32 s1, 0x3fe948f6
	v_sub_u32_e32 v57, v128, v56
	v_lshrrev_b32_e32 v57, 1, v57
	v_add_u32_e32 v56, v57, v56
	v_lshrrev_b32_e32 v56, 4, v56
	v_mul_lo_u32 v56, v56, 19
	s_mov_b32 s2, 0xe976ee23
	s_mov_b32 s3, 0xbfe11646
	;; [unrolled: 1-line block ×3, first 2 shown]
	v_sub_u32_e32 v56, v128, v56
	v_mul_u32_u24_e32 v56, 0x5b, v56
	v_lshlrev_b32_e32 v204, 4, v56
	v_add_u32_e32 v255, v157, v204
	s_mov_b32 s5, 0xbff2aaaa
	v_add_co_u32_e32 v129, vcc, s12, v157
	v_addc_co_u32_e32 v130, vcc, 0, v84, vcc
	v_cmp_gt_u16_e32 vcc, 7, v199
	s_waitcnt vmcnt(12)
	v_mul_f64 v[56:57], v[30:31], v[26:27]
	s_waitcnt vmcnt(10)
	v_mul_f64 v[60:61], v[34:35], v[14:15]
	v_mul_f64 v[58:59], v[28:29], v[26:27]
	;; [unrolled: 1-line block ×3, first 2 shown]
	v_fma_f64 v[28:29], v[28:29], v[24:25], v[56:57]
	buffer_store_dword v24, off, s[44:47], 0 offset:96 ; 4-byte Folded Spill
	s_nop 0
	buffer_store_dword v25, off, s[44:47], 0 offset:100 ; 4-byte Folded Spill
	buffer_store_dword v26, off, s[44:47], 0 offset:104 ; 4-byte Folded Spill
	;; [unrolled: 1-line block ×3, first 2 shown]
	v_fma_f64 v[32:33], v[32:33], v[12:13], v[60:61]
	buffer_store_dword v12, off, s[44:47], 0 offset:48 ; 4-byte Folded Spill
	s_nop 0
	buffer_store_dword v13, off, s[44:47], 0 offset:52 ; 4-byte Folded Spill
	buffer_store_dword v14, off, s[44:47], 0 offset:56 ; 4-byte Folded Spill
	;; [unrolled: 1-line block ×3, first 2 shown]
	s_waitcnt vmcnt(16)
	v_mul_f64 v[64:65], v[38:39], v[18:19]
	s_waitcnt vmcnt(14)
	v_mul_f64 v[68:69], v[42:43], v[6:7]
	v_mul_f64 v[66:67], v[36:37], v[18:19]
	;; [unrolled: 1-line block ×3, first 2 shown]
	s_waitcnt vmcnt(11)
	v_mul_f64 v[72:73], v[46:47], v[22:23]
	s_waitcnt vmcnt(10)
	v_mul_f64 v[76:77], v[50:51], v[2:3]
	v_fma_f64 v[36:37], v[36:37], v[16:17], v[64:65]
	buffer_store_dword v16, off, s[44:47], 0 offset:64 ; 4-byte Folded Spill
	s_nop 0
	buffer_store_dword v17, off, s[44:47], 0 offset:68 ; 4-byte Folded Spill
	buffer_store_dword v18, off, s[44:47], 0 offset:72 ; 4-byte Folded Spill
	buffer_store_dword v19, off, s[44:47], 0 offset:76 ; 4-byte Folded Spill
	v_fma_f64 v[40:41], v[40:41], v[4:5], v[68:69]
	buffer_store_dword v4, off, s[44:47], 0 offset:16 ; 4-byte Folded Spill
	s_nop 0
	buffer_store_dword v5, off, s[44:47], 0 offset:20 ; 4-byte Folded Spill
	buffer_store_dword v6, off, s[44:47], 0 offset:24 ; 4-byte Folded Spill
	;; [unrolled: 1-line block ×3, first 2 shown]
	v_mul_f64 v[74:75], v[44:45], v[22:23]
	s_waitcnt vmcnt(16)
	v_mul_f64 v[80:81], v[54:55], v[10:11]
	v_fma_f64 v[44:45], v[44:45], v[20:21], v[72:73]
	buffer_store_dword v20, off, s[44:47], 0 offset:80 ; 4-byte Folded Spill
	s_nop 0
	buffer_store_dword v21, off, s[44:47], 0 offset:84 ; 4-byte Folded Spill
	buffer_store_dword v22, off, s[44:47], 0 offset:88 ; 4-byte Folded Spill
	;; [unrolled: 1-line block ×3, first 2 shown]
	v_mul_f64 v[78:79], v[48:49], v[2:3]
	v_fma_f64 v[48:49], v[48:49], v[0:1], v[76:77]
	buffer_store_dword v0, off, s[44:47], 0 ; 4-byte Folded Spill
	s_nop 0
	buffer_store_dword v1, off, s[44:47], 0 offset:4 ; 4-byte Folded Spill
	buffer_store_dword v2, off, s[44:47], 0 offset:8 ; 4-byte Folded Spill
	;; [unrolled: 1-line block ×3, first 2 shown]
	v_mul_f64 v[82:83], v[52:53], v[10:11]
	v_fma_f64 v[52:53], v[52:53], v[8:9], v[80:81]
	buffer_store_dword v8, off, s[44:47], 0 offset:32 ; 4-byte Folded Spill
	s_nop 0
	buffer_store_dword v9, off, s[44:47], 0 offset:36 ; 4-byte Folded Spill
	buffer_store_dword v10, off, s[44:47], 0 offset:40 ; 4-byte Folded Spill
	buffer_store_dword v11, off, s[44:47], 0 offset:44 ; 4-byte Folded Spill
                                        ; implicit-def: $vgpr80_vgpr81
	v_fma_f64 v[30:31], v[30:31], v[24:25], -v[58:59]
	v_fma_f64 v[34:35], v[34:35], v[12:13], -v[62:63]
	;; [unrolled: 1-line block ×7, first 2 shown]
	ds_write_b128 v255, v[28:31]
	ds_write_b128 v255, v[32:35] offset:208
	ds_write_b128 v255, v[36:39] offset:416
	;; [unrolled: 1-line block ×6, first 2 shown]
	s_waitcnt vmcnt(0) lgkmcnt(0)
	s_barrier
	ds_read_b128 v[28:31], v255
	ds_read_b128 v[32:35], v255 offset:208
	ds_read_b128 v[36:39], v255 offset:1248
	;; [unrolled: 1-line block ×6, first 2 shown]
	s_waitcnt lgkmcnt(4)
	v_add_f64 v[56:57], v[32:33], v[36:37]
	v_add_f64 v[58:59], v[34:35], v[38:39]
	v_add_f64 v[32:33], v[32:33], -v[36:37]
	v_add_f64 v[34:35], v[34:35], -v[38:39]
	s_waitcnt lgkmcnt(0)
	v_add_f64 v[36:37], v[40:41], v[52:53]
	v_add_f64 v[38:39], v[42:43], v[54:55]
	v_add_f64 v[40:41], v[40:41], -v[52:53]
	v_add_f64 v[42:43], v[42:43], -v[54:55]
	v_add_f64 v[52:53], v[44:45], v[48:49]
	v_add_f64 v[54:55], v[46:47], v[50:51]
	v_add_f64 v[44:45], v[48:49], -v[44:45]
	v_add_f64 v[46:47], v[50:51], -v[46:47]
	;; [unrolled: 4-line block ×3, first 2 shown]
	v_add_f64 v[56:57], v[56:57], -v[52:53]
	v_add_f64 v[58:59], v[58:59], -v[54:55]
	;; [unrolled: 1-line block ×4, first 2 shown]
	v_add_f64 v[48:49], v[52:53], v[48:49]
	v_add_f64 v[50:51], v[54:55], v[50:51]
	v_add_f64 v[68:69], v[44:45], -v[40:41]
	v_add_f64 v[70:71], v[46:47], -v[42:43]
	v_add_f64 v[64:65], v[44:45], v[40:41]
	v_add_f64 v[66:67], v[46:47], v[42:43]
	v_add_f64 v[40:41], v[40:41], -v[32:33]
	v_add_f64 v[42:43], v[42:43], -v[34:35]
	v_add_f64 v[76:77], v[28:29], v[48:49]
	v_add_f64 v[78:79], v[30:31], v[50:51]
	v_mul_f64 v[28:29], v[56:57], s[0:1]
	v_mul_f64 v[30:31], v[58:59], s[0:1]
	s_mov_b32 s0, 0x36b3c0b5
	s_mov_b32 s1, 0x3fac98ee
	v_mul_f64 v[52:53], v[36:37], s[0:1]
	v_mul_f64 v[54:55], v[38:39], s[0:1]
	;; [unrolled: 1-line block ×4, first 2 shown]
	s_mov_b32 s2, 0x429ad128
	v_add_f64 v[44:45], v[32:33], -v[44:45]
	v_add_f64 v[46:47], v[34:35], -v[46:47]
	s_mov_b32 s3, 0x3febfeb5
	v_add_f64 v[32:33], v[64:65], v[32:33]
	v_add_f64 v[34:35], v[66:67], v[34:35]
	v_mul_f64 v[64:65], v[40:41], s[2:3]
	v_mul_f64 v[66:67], v[42:43], s[2:3]
	v_fma_f64 v[36:37], v[36:37], s[0:1], v[28:29]
	v_fma_f64 v[38:39], v[38:39], s[0:1], v[30:31]
	s_mov_b32 s1, 0x3fe77f67
	s_mov_b32 s0, 0x5476071b
	v_fma_f64 v[52:53], v[60:61], s[0:1], -v[52:53]
	v_fma_f64 v[54:55], v[62:63], s[0:1], -v[54:55]
	s_mov_b32 s1, 0xbfe77f67
	v_fma_f64 v[28:29], v[60:61], s[0:1], -v[28:29]
	v_fma_f64 v[30:31], v[62:63], s[0:1], -v[30:31]
	s_mov_b32 s1, 0x3fd5d0dc
	s_mov_b32 s0, 0xb247c609
	v_fma_f64 v[60:61], v[44:45], s[0:1], v[56:57]
	v_fma_f64 v[62:63], v[46:47], s[0:1], v[58:59]
	s_mov_b32 s1, 0xbfd5d0dc
	v_fma_f64 v[48:49], v[48:49], s[4:5], v[76:77]
	v_fma_f64 v[50:51], v[50:51], s[4:5], v[78:79]
	v_fma_f64 v[40:41], v[40:41], s[2:3], -v[56:57]
	v_fma_f64 v[42:43], v[42:43], s[2:3], -v[58:59]
	;; [unrolled: 1-line block ×4, first 2 shown]
	s_mov_b32 s0, 0x37c3f68c
	s_mov_b32 s1, 0x3fdc38aa
	v_add_f64 v[36:37], v[36:37], v[48:49]
	v_add_f64 v[38:39], v[38:39], v[50:51]
	;; [unrolled: 1-line block ×6, first 2 shown]
	v_fma_f64 v[48:49], v[32:33], s[0:1], v[60:61]
	v_fma_f64 v[50:51], v[34:35], s[0:1], v[62:63]
	;; [unrolled: 1-line block ×6, first 2 shown]
	s_barrier
	v_add_f64 v[86:87], v[38:39], -v[48:49]
	v_add_f64 v[84:85], v[36:37], v[50:51]
	v_add_f64 v[94:95], v[40:41], v[54:55]
	v_add_f64 v[92:93], v[52:53], -v[42:43]
	v_add_f64 v[88:89], v[28:29], v[34:35]
	v_add_f64 v[90:91], v[30:31], -v[32:33]
	;; [unrolled: 2-line block ×3, first 2 shown]
	v_add_f64 v[100:101], v[28:29], -v[34:35]
	v_add_f64 v[102:103], v[32:33], v[30:31]
	v_add_f64 v[104:105], v[36:37], -v[50:51]
	v_add_f64 v[106:107], v[48:49], v[38:39]
	v_mul_lo_u16_e32 v28, 7, v199
	v_lshl_add_u32 v158, v28, 4, v204
	ds_write_b128 v158, v[76:79]
	ds_write_b128 v158, v[84:87] offset:16
	ds_write_b128 v158, v[88:91] offset:32
	;; [unrolled: 1-line block ×6, first 2 shown]
	s_waitcnt lgkmcnt(0)
	s_barrier
	s_and_saveexec_b64 s[0:1], vcc
	s_cbranch_execz .LBB0_3
; %bb.2:
	ds_read_b128 v[76:79], v255
	ds_read_b128 v[84:87], v255 offset:112
	ds_read_b128 v[88:91], v255 offset:224
	;; [unrolled: 1-line block ×12, first 2 shown]
.LBB0_3:
	s_or_b64 exec, exec, s[0:1]
	v_add_u32_e32 v28, -7, v199
	v_cndmask_b32_e32 v28, v28, v199, vcc
	v_mul_hi_i32_i24_e32 v29, 12, v28
	v_mul_i32_i24_e32 v28, 12, v28
	v_lshlrev_b64 v[28:29], 4, v[28:29]
	v_mov_b32_e32 v30, s15
	v_add_co_u32_e64 v52, s[0:1], s14, v28
	v_addc_co_u32_e64 v53, s[0:1], v30, v29, s[0:1]
	global_load_dwordx4 v[32:35], v[52:53], off
	global_load_dwordx4 v[28:31], v[52:53], off offset:16
	global_load_dwordx4 v[36:39], v[52:53], off offset:32
	;; [unrolled: 1-line block ×10, first 2 shown]
	s_nop 0
	global_load_dwordx4 v[52:55], v[52:53], off offset:144
	s_mov_b32 s19, 0xbfddbe06
	s_mov_b32 s18, 0x4267c47c
	;; [unrolled: 1-line block ×30, first 2 shown]
	s_waitcnt vmcnt(11) lgkmcnt(11)
	v_mul_f64 v[133:134], v[84:85], v[34:35]
	s_waitcnt vmcnt(10) lgkmcnt(10)
	v_mul_f64 v[137:138], v[88:89], v[30:31]
	v_mul_f64 v[135:136], v[90:91], v[30:31]
	s_waitcnt vmcnt(9) lgkmcnt(9)
	v_mul_f64 v[141:142], v[92:93], v[38:39]
	s_waitcnt vmcnt(8) lgkmcnt(8)
	v_mul_f64 v[145:146], v[96:97], v[42:43]
	v_mul_f64 v[131:132], v[86:87], v[34:35]
	;; [unrolled: 1-line block ×4, first 2 shown]
	s_waitcnt vmcnt(7) lgkmcnt(7)
	v_mul_f64 v[147:148], v[102:103], v[62:63]
	v_fma_f64 v[2:3], v[90:91], v[28:29], v[137:138]
	s_waitcnt vmcnt(4) lgkmcnt(0)
	v_mul_f64 v[90:91], v[124:125], v[46:47]
	v_fma_f64 v[6:7], v[86:87], v[32:33], v[133:134]
	v_fma_f64 v[245:246], v[94:95], v[36:37], v[141:142]
	v_mul_f64 v[94:95], v[126:127], v[46:47]
	v_fma_f64 v[237:238], v[98:99], v[40:41], v[145:146]
	s_waitcnt vmcnt(2)
	v_mul_f64 v[98:99], v[120:121], v[50:51]
	v_mul_f64 v[149:150], v[100:101], v[62:63]
	v_fma_f64 v[0:1], v[84:85], v[32:33], -v[131:132]
	v_fma_f64 v[200:201], v[126:127], v[44:45], v[90:91]
	v_fma_f64 v[229:230], v[100:101], v[60:61], -v[147:148]
	v_mul_f64 v[84:85], v[104:105], v[70:71]
	v_fma_f64 v[202:203], v[124:125], v[44:45], -v[94:95]
	v_mul_f64 v[94:95], v[122:123], v[50:51]
	v_fma_f64 v[207:208], v[122:123], v[48:49], v[98:99]
	v_mul_f64 v[86:87], v[110:111], v[66:67]
	v_fma_f64 v[247:248], v[88:89], v[28:29], -v[135:136]
	v_add_f64 v[100:101], v[6:7], -v[200:201]
	v_mul_f64 v[88:89], v[108:109], v[66:67]
	v_fma_f64 v[231:232], v[102:103], v[60:61], v[149:150]
	v_add_f64 v[173:174], v[0:1], v[202:203]
	v_fma_f64 v[209:210], v[120:121], v[48:49], -v[94:95]
	v_add_f64 v[102:103], v[2:3], -v[207:208]
	v_fma_f64 v[233:234], v[106:107], v[68:69], v[84:85]
	s_waitcnt vmcnt(0)
	v_mul_f64 v[84:85], v[82:83], v[54:55]
	v_mul_f64 v[239:240], v[100:101], s[18:19]
	v_fma_f64 v[217:218], v[108:109], v[64:65], -v[86:87]
	v_fma_f64 v[221:222], v[110:111], v[64:65], v[88:89]
	v_mul_f64 v[86:87], v[80:81], v[54:55]
	v_add_f64 v[167:168], v[247:248], v[209:210]
	v_mul_f64 v[241:242], v[102:103], s[20:21]
	v_add_f64 v[205:206], v[0:1], -v[202:203]
	v_fma_f64 v[4:5], v[80:81], v[52:53], -v[84:85]
	v_fma_f64 v[88:89], v[173:174], s[0:1], v[239:240]
	v_add_f64 v[185:186], v[6:7], v[200:201]
	v_add_f64 v[249:250], v[247:248], -v[209:210]
	v_fma_f64 v[10:11], v[82:83], v[52:53], v[86:87]
	v_fma_f64 v[243:244], v[92:93], v[36:37], -v[139:140]
	v_fma_f64 v[80:81], v[167:168], s[2:3], v[241:242]
	v_mul_f64 v[14:15], v[205:206], s[18:19]
	v_mul_f64 v[126:127], v[116:117], v[58:59]
	v_add_f64 v[82:83], v[76:77], v[88:89]
	v_add_f64 v[183:184], v[2:3], v[207:208]
	v_mul_f64 v[8:9], v[249:250], s[20:21]
	v_add_f64 v[251:252], v[245:246], -v[10:11]
	v_mul_f64 v[90:91], v[118:119], v[58:59]
	v_add_f64 v[179:180], v[243:244], v[4:5]
	v_add_f64 v[253:254], v[243:244], -v[4:5]
	v_fma_f64 v[213:214], v[118:119], v[56:57], v[126:127]
	v_add_f64 v[80:81], v[80:81], v[82:83]
	v_fma_f64 v[82:83], v[185:186], s[0:1], -v[14:15]
	v_fma_f64 v[84:85], v[183:184], s[2:3], -v[8:9]
	v_mul_f64 v[12:13], v[251:252], s[26:27]
	v_fma_f64 v[235:236], v[96:97], v[40:41], -v[143:144]
	v_mul_f64 v[96:97], v[112:113], v[74:75]
	v_fma_f64 v[211:212], v[116:117], v[56:57], -v[90:91]
	v_add_f64 v[181:182], v[245:246], v[10:11]
	v_mul_f64 v[18:19], v[253:254], s[26:27]
	v_add_f64 v[82:83], v[78:79], v[82:83]
	v_add_f64 v[159:160], v[237:238], -v[213:214]
	v_mul_f64 v[92:93], v[114:115], v[74:75]
	v_add_f64 v[189:190], v[237:238], v[213:214]
	v_fma_f64 v[219:220], v[114:115], v[72:73], v[96:97]
	v_add_f64 v[187:188], v[235:236], v[211:212]
	v_add_f64 v[161:162], v[235:236], -v[211:212]
	v_mul_f64 v[151:152], v[106:107], v[70:71]
	v_add_f64 v[82:83], v[84:85], v[82:83]
	v_fma_f64 v[84:85], v[179:180], s[4:5], v[12:13]
	v_mul_f64 v[16:17], v[159:160], s[24:25]
	v_fma_f64 v[215:216], v[112:113], v[72:73], -v[92:93]
	v_add_f64 v[163:164], v[231:232], -v[219:220]
	v_add_f64 v[195:196], v[231:232], v[219:220]
	v_mul_f64 v[22:23], v[161:162], s[24:25]
	v_fma_f64 v[223:224], v[104:105], v[68:69], -v[151:152]
	v_add_f64 v[193:194], v[233:234], -v[221:222]
	v_add_f64 v[80:81], v[84:85], v[80:81]
	v_fma_f64 v[84:85], v[181:182], s[4:5], -v[18:19]
	v_add_f64 v[197:198], v[229:230], v[215:216]
	v_mul_f64 v[20:21], v[163:164], s[28:29]
	v_add_f64 v[165:166], v[229:230], -v[215:216]
	v_add_f64 v[227:228], v[233:234], v[221:222]
	v_add_f64 v[225:226], v[223:224], v[217:218]
	v_mul_f64 v[24:25], v[193:194], s[30:31]
	v_add_f64 v[118:119], v[223:224], -v[217:218]
	v_add_f64 v[82:83], v[84:85], v[82:83]
	v_fma_f64 v[84:85], v[187:188], s[16:17], v[16:17]
	v_mul_f64 v[86:87], v[102:103], s[24:25]
	v_mul_f64 v[26:27], v[165:166], s[28:29]
	;; [unrolled: 1-line block ×3, first 2 shown]
	s_mov_b32 s19, 0x3fddbe06
	v_mul_f64 v[90:91], v[102:103], s[30:31]
	v_mul_f64 v[116:117], v[205:206], s[26:27]
	;; [unrolled: 1-line block ×3, first 2 shown]
	v_add_f64 v[80:81], v[84:85], v[80:81]
	v_fma_f64 v[84:85], v[189:190], s[16:17], -v[22:23]
	v_mul_f64 v[175:176], v[100:101], s[24:25]
	v_mul_f64 v[171:172], v[102:103], s[36:37]
	;; [unrolled: 1-line block ×5, first 2 shown]
	v_fma_f64 v[92:93], v[183:184], s[22:23], -v[120:121]
	v_mul_f64 v[122:123], v[253:254], s[18:19]
	v_add_f64 v[82:83], v[84:85], v[82:83]
	v_fma_f64 v[84:85], v[197:198], s[14:15], v[20:21]
	v_fma_f64 v[94:95], v[167:168], s[14:15], v[171:172]
	v_mul_f64 v[177:178], v[159:160], s[26:27]
	v_fma_f64 v[96:97], v[183:184], s[14:15], -v[108:109]
	v_mul_f64 v[106:107], v[161:162], s[26:27]
	v_mul_f64 v[145:146], v[100:101], s[28:29]
	;; [unrolled: 1-line block ×4, first 2 shown]
	v_add_f64 v[80:81], v[84:85], v[80:81]
	v_fma_f64 v[84:85], v[195:196], s[14:15], -v[26:27]
	v_mul_f64 v[147:148], v[249:250], s[34:35]
	v_mul_f64 v[135:136], v[251:252], s[20:21]
	;; [unrolled: 1-line block ×4, first 2 shown]
	v_fma_f64 v[98:99], v[167:168], s[4:5], v[137:138]
	v_mul_f64 v[141:142], v[165:166], s[18:19]
	v_mul_f64 v[155:156], v[100:101], s[30:31]
	v_add_f64 v[82:83], v[84:85], v[82:83]
	v_fma_f64 v[84:85], v[225:226], s[22:23], v[24:25]
	v_fma_f64 v[114:115], v[183:184], s[4:5], -v[147:148]
	v_mul_f64 v[191:192], v[205:206], s[30:31]
	v_mul_f64 v[249:250], v[249:250], s[18:19]
	v_add_f64 v[80:81], v[84:85], v[80:81]
	v_mul_f64 v[84:85], v[118:119], s[30:31]
	buffer_store_dword v84, off, s[44:47], 0 offset:112 ; 4-byte Folded Spill
	s_nop 0
	buffer_store_dword v85, off, s[44:47], 0 offset:116 ; 4-byte Folded Spill
	v_fma_f64 v[84:85], v[227:228], s[22:23], -v[84:85]
	v_add_f64 v[82:83], v[84:85], v[82:83]
	v_mul_f64 v[84:85], v[100:101], s[20:21]
	buffer_store_dword v84, off, s[44:47], 0 offset:120 ; 4-byte Folded Spill
	s_nop 0
	buffer_store_dword v85, off, s[44:47], 0 offset:124 ; 4-byte Folded Spill
	buffer_store_dword v86, off, s[44:47], 0 offset:128 ; 4-byte Folded Spill
	s_nop 0
	buffer_store_dword v87, off, s[44:47], 0 offset:132 ; 4-byte Folded Spill
	v_fma_f64 v[84:85], v[173:174], s[2:3], v[84:85]
	v_fma_f64 v[86:87], v[167:168], s[16:17], v[86:87]
	v_add_f64 v[84:85], v[76:77], v[84:85]
	v_add_f64 v[84:85], v[86:87], v[84:85]
	v_mul_f64 v[86:87], v[205:206], s[20:21]
	buffer_store_dword v86, off, s[44:47], 0 offset:168 ; 4-byte Folded Spill
	s_nop 0
	buffer_store_dword v87, off, s[44:47], 0 offset:172 ; 4-byte Folded Spill
	buffer_store_dword v88, off, s[44:47], 0 offset:176 ; 4-byte Folded Spill
	s_nop 0
	buffer_store_dword v89, off, s[44:47], 0 offset:180 ; 4-byte Folded Spill
	v_fma_f64 v[205:206], v[183:184], s[0:1], -v[249:250]
	v_fma_f64 v[86:87], v[185:186], s[2:3], -v[86:87]
	;; [unrolled: 1-line block ×3, first 2 shown]
	v_add_f64 v[86:87], v[78:79], v[86:87]
	v_add_f64 v[86:87], v[88:89], v[86:87]
	v_mul_f64 v[88:89], v[251:252], s[30:31]
	buffer_store_dword v88, off, s[44:47], 0 offset:136 ; 4-byte Folded Spill
	s_nop 0
	buffer_store_dword v89, off, s[44:47], 0 offset:140 ; 4-byte Folded Spill
	v_fma_f64 v[88:89], v[179:180], s[22:23], v[88:89]
	v_add_f64 v[84:85], v[88:89], v[84:85]
	v_mul_f64 v[88:89], v[253:254], s[30:31]
	buffer_store_dword v88, off, s[44:47], 0 offset:184 ; 4-byte Folded Spill
	s_nop 0
	buffer_store_dword v89, off, s[44:47], 0 offset:188 ; 4-byte Folded Spill
	v_fma_f64 v[88:89], v[181:182], s[22:23], -v[88:89]
	v_add_f64 v[86:87], v[88:89], v[86:87]
	v_mul_f64 v[88:89], v[159:160], s[36:37]
	buffer_store_dword v88, off, s[44:47], 0 offset:144 ; 4-byte Folded Spill
	s_nop 0
	buffer_store_dword v89, off, s[44:47], 0 offset:148 ; 4-byte Folded Spill
	v_fma_f64 v[88:89], v[187:188], s[14:15], v[88:89]
	v_add_f64 v[84:85], v[88:89], v[84:85]
	v_mul_f64 v[88:89], v[161:162], s[36:37]
	buffer_store_dword v88, off, s[44:47], 0 offset:192 ; 4-byte Folded Spill
	s_nop 0
	buffer_store_dword v89, off, s[44:47], 0 offset:196 ; 4-byte Folded Spill
	s_mov_b32 s37, 0x3fea55e2
	s_mov_b32 s36, s20
	v_mul_f64 v[169:170], v[193:194], s[36:37]
	v_mul_f64 v[110:111], v[118:119], s[36:37]
	v_fma_f64 v[88:89], v[189:190], s[14:15], -v[88:89]
	v_add_f64 v[86:87], v[88:89], v[86:87]
	v_mul_f64 v[88:89], v[163:164], s[34:35]
	buffer_store_dword v88, off, s[44:47], 0 offset:160 ; 4-byte Folded Spill
	s_nop 0
	buffer_store_dword v89, off, s[44:47], 0 offset:164 ; 4-byte Folded Spill
	v_fma_f64 v[88:89], v[197:198], s[4:5], v[88:89]
	v_add_f64 v[84:85], v[88:89], v[84:85]
	v_mul_f64 v[88:89], v[165:166], s[34:35]
	buffer_store_dword v88, off, s[44:47], 0 offset:200 ; 4-byte Folded Spill
	s_nop 0
	buffer_store_dword v89, off, s[44:47], 0 offset:204 ; 4-byte Folded Spill
	v_fma_f64 v[88:89], v[195:196], s[4:5], -v[88:89]
	v_add_f64 v[86:87], v[88:89], v[86:87]
	v_mul_f64 v[88:89], v[193:194], s[18:19]
	buffer_store_dword v88, off, s[44:47], 0 offset:152 ; 4-byte Folded Spill
	s_nop 0
	buffer_store_dword v89, off, s[44:47], 0 offset:156 ; 4-byte Folded Spill
	v_fma_f64 v[88:89], v[225:226], s[0:1], v[88:89]
	v_add_f64 v[84:85], v[88:89], v[84:85]
	v_mul_f64 v[88:89], v[118:119], s[18:19]
	buffer_store_dword v88, off, s[44:47], 0 offset:208 ; 4-byte Folded Spill
	s_nop 0
	buffer_store_dword v89, off, s[44:47], 0 offset:212 ; 4-byte Folded Spill
	v_fma_f64 v[88:89], v[227:228], s[0:1], -v[88:89]
	v_add_f64 v[86:87], v[88:89], v[86:87]
	v_mul_f64 v[88:89], v[100:101], s[26:27]
	buffer_store_dword v88, off, s[44:47], 0 offset:224 ; 4-byte Folded Spill
	s_nop 0
	buffer_store_dword v89, off, s[44:47], 0 offset:228 ; 4-byte Folded Spill
	buffer_store_dword v90, off, s[44:47], 0 offset:216 ; 4-byte Folded Spill
	s_nop 0
	buffer_store_dword v91, off, s[44:47], 0 offset:220 ; 4-byte Folded Spill
	s_mov_b32 s27, 0x3fcea1e5
	s_mov_b32 s26, s30
	v_mul_f64 v[126:127], v[163:164], s[26:27]
	v_mul_f64 v[104:105], v[165:166], s[26:27]
	;; [unrolled: 1-line block ×4, first 2 shown]
	v_fma_f64 v[100:101], v[173:174], s[22:23], v[155:156]
	v_add_f64 v[100:101], v[76:77], v[100:101]
	v_fma_f64 v[88:89], v[173:174], s[4:5], v[88:89]
	v_fma_f64 v[90:91], v[167:168], s[22:23], v[90:91]
	v_add_f64 v[88:89], v[76:77], v[88:89]
	v_add_f64 v[88:89], v[90:91], v[88:89]
	v_fma_f64 v[90:91], v[185:186], s[4:5], -v[116:117]
	v_add_f64 v[90:91], v[78:79], v[90:91]
	v_add_f64 v[90:91], v[92:93], v[90:91]
	v_mul_f64 v[92:93], v[251:252], s[38:39]
	buffer_store_dword v92, off, s[44:47], 0 offset:232 ; 4-byte Folded Spill
	s_nop 0
	buffer_store_dword v93, off, s[44:47], 0 offset:236 ; 4-byte Folded Spill
	v_fma_f64 v[92:93], v[179:180], s[16:17], v[92:93]
	v_add_f64 v[88:89], v[92:93], v[88:89]
	v_mul_f64 v[92:93], v[253:254], s[38:39]
	buffer_store_dword v92, off, s[44:47], 0 offset:256 ; 4-byte Folded Spill
	s_nop 0
	buffer_store_dword v93, off, s[44:47], 0 offset:260 ; 4-byte Folded Spill
	v_fma_f64 v[92:93], v[181:182], s[16:17], -v[92:93]
	v_add_f64 v[90:91], v[92:93], v[90:91]
	v_mul_f64 v[92:93], v[159:160], s[18:19]
	buffer_store_dword v92, off, s[44:47], 0 offset:240 ; 4-byte Folded Spill
	s_nop 0
	buffer_store_dword v93, off, s[44:47], 0 offset:244 ; 4-byte Folded Spill
	v_mul_f64 v[159:160], v[159:160], s[36:37]
	v_fma_f64 v[92:93], v[187:188], s[0:1], v[92:93]
	v_add_f64 v[88:89], v[92:93], v[88:89]
	v_mul_f64 v[92:93], v[161:162], s[18:19]
	buffer_store_dword v92, off, s[44:47], 0 offset:264 ; 4-byte Folded Spill
	s_nop 0
	buffer_store_dword v93, off, s[44:47], 0 offset:268 ; 4-byte Folded Spill
	v_fma_f64 v[92:93], v[189:190], s[0:1], -v[92:93]
	v_add_f64 v[90:91], v[92:93], v[90:91]
	v_mul_f64 v[92:93], v[163:164], s[20:21]
	buffer_store_dword v92, off, s[44:47], 0 offset:248 ; 4-byte Folded Spill
	s_nop 0
	buffer_store_dword v93, off, s[44:47], 0 offset:252 ; 4-byte Folded Spill
	v_fma_f64 v[92:93], v[197:198], s[2:3], v[92:93]
	v_add_f64 v[88:89], v[92:93], v[88:89]
	v_mul_f64 v[92:93], v[165:166], s[20:21]
	buffer_store_dword v92, off, s[44:47], 0 offset:280 ; 4-byte Folded Spill
	s_nop 0
	buffer_store_dword v93, off, s[44:47], 0 offset:284 ; 4-byte Folded Spill
	v_mul_f64 v[165:166], v[165:166], s[24:25]
	v_fma_f64 v[92:93], v[195:196], s[2:3], -v[92:93]
	v_add_f64 v[90:91], v[92:93], v[90:91]
	v_mul_f64 v[92:93], v[193:194], s[28:29]
	buffer_store_dword v92, off, s[44:47], 0 offset:272 ; 4-byte Folded Spill
	s_nop 0
	buffer_store_dword v93, off, s[44:47], 0 offset:276 ; 4-byte Folded Spill
	v_fma_f64 v[92:93], v[225:226], s[14:15], v[92:93]
	v_add_f64 v[88:89], v[92:93], v[88:89]
	v_mul_f64 v[92:93], v[118:119], s[28:29]
	buffer_store_dword v92, off, s[44:47], 0 offset:288 ; 4-byte Folded Spill
	s_nop 0
	buffer_store_dword v93, off, s[44:47], 0 offset:292 ; 4-byte Folded Spill
	v_fma_f64 v[92:93], v[227:228], s[14:15], -v[92:93]
	v_add_f64 v[90:91], v[92:93], v[90:91]
	v_fma_f64 v[92:93], v[173:174], s[16:17], v[175:176]
	v_add_f64 v[92:93], v[76:77], v[92:93]
	v_add_f64 v[92:93], v[94:95], v[92:93]
	v_fma_f64 v[94:95], v[185:186], s[16:17], -v[112:113]
	v_add_f64 v[94:95], v[78:79], v[94:95]
	v_add_f64 v[94:95], v[96:97], v[94:95]
	v_fma_f64 v[96:97], v[179:180], s[0:1], v[124:125]
	v_add_f64 v[92:93], v[96:97], v[92:93]
	v_fma_f64 v[96:97], v[181:182], s[0:1], -v[122:123]
	v_add_f64 v[94:95], v[96:97], v[94:95]
	v_fma_f64 v[96:97], v[187:188], s[4:5], v[177:178]
	v_add_f64 v[92:93], v[96:97], v[92:93]
	v_fma_f64 v[96:97], v[189:190], s[4:5], -v[106:107]
	;; [unrolled: 4-line block ×4, first 2 shown]
	v_add_f64 v[94:95], v[96:97], v[94:95]
	v_fma_f64 v[96:97], v[173:174], s[14:15], v[145:146]
	v_add_f64 v[96:97], v[76:77], v[96:97]
	v_add_f64 v[96:97], v[98:99], v[96:97]
	v_fma_f64 v[98:99], v[185:186], s[14:15], -v[151:152]
	v_add_f64 v[98:99], v[78:79], v[98:99]
	v_add_f64 v[98:99], v[114:115], v[98:99]
	v_fma_f64 v[114:115], v[179:180], s[2:3], v[135:136]
	v_add_f64 v[96:97], v[114:115], v[96:97]
	v_fma_f64 v[114:115], v[181:182], s[2:3], -v[149:150]
	v_add_f64 v[98:99], v[114:115], v[98:99]
	v_fma_f64 v[114:115], v[187:188], s[22:23], v[133:134]
	v_add_f64 v[96:97], v[114:115], v[96:97]
	v_fma_f64 v[114:115], v[189:190], s[22:23], -v[143:144]
	;; [unrolled: 4-line block ×3, first 2 shown]
	v_add_f64 v[98:99], v[114:115], v[98:99]
	v_mul_f64 v[114:115], v[193:194], s[24:25]
	v_fma_f64 v[139:140], v[225:226], s[16:17], v[114:115]
	v_add_f64 v[96:97], v[139:140], v[96:97]
	v_mul_f64 v[139:140], v[118:119], s[24:25]
	v_fma_f64 v[153:154], v[227:228], s[16:17], -v[139:140]
	v_add_f64 v[98:99], v[153:154], v[98:99]
	v_mul_f64 v[153:154], v[102:103], s[18:19]
	v_fma_f64 v[102:103], v[167:168], s[0:1], v[153:154]
	v_add_f64 v[100:101], v[102:103], v[100:101]
	v_fma_f64 v[102:103], v[185:186], s[22:23], -v[191:192]
	v_add_f64 v[102:103], v[78:79], v[102:103]
	v_add_f64 v[102:103], v[205:206], v[102:103]
	v_mul_f64 v[205:206], v[251:252], s[28:29]
	v_fma_f64 v[251:252], v[179:180], s[14:15], v[205:206]
	v_add_f64 v[100:101], v[251:252], v[100:101]
	v_mul_f64 v[251:252], v[253:254], s[28:29]
	v_fma_f64 v[253:254], v[181:182], s[14:15], -v[251:252]
	v_add_f64 v[102:103], v[253:254], v[102:103]
	v_fma_f64 v[253:254], v[187:188], s[2:3], v[159:160]
	v_add_f64 v[100:101], v[253:254], v[100:101]
	v_mul_f64 v[253:254], v[161:162], s[36:37]
	v_fma_f64 v[161:162], v[189:190], s[2:3], -v[253:254]
	v_add_f64 v[102:103], v[161:162], v[102:103]
	v_mul_f64 v[161:162], v[163:164], s[24:25]
	v_fma_f64 v[163:164], v[197:198], s[16:17], v[161:162]
	v_add_f64 v[100:101], v[163:164], v[100:101]
	v_fma_f64 v[163:164], v[195:196], s[16:17], -v[165:166]
	v_add_f64 v[102:103], v[163:164], v[102:103]
	v_mul_f64 v[163:164], v[193:194], s[34:35]
	v_mul_f64 v[193:194], v[118:119], s[34:35]
	v_fma_f64 v[118:119], v[225:226], s[4:5], v[163:164]
	v_add_f64 v[100:101], v[118:119], v[100:101]
	v_fma_f64 v[118:119], v[227:228], s[4:5], -v[193:194]
	v_add_f64 v[102:103], v[118:119], v[102:103]
	s_and_saveexec_b64 s[18:19], vcc
	s_cbranch_execz .LBB0_5
; %bb.4:
	v_mul_f64 v[118:119], v[227:228], s[4:5]
	v_add_f64 v[118:119], v[193:194], v[118:119]
	v_mul_f64 v[193:194], v[195:196], s[16:17]
	v_add_f64 v[165:166], v[165:166], v[193:194]
	;; [unrolled: 2-line block ×6, first 2 shown]
	v_add_f64 v[249:250], v[249:250], v[253:254]
	v_mul_f64 v[253:254], v[225:226], s[4:5]
	v_add_f64 v[191:192], v[249:250], v[191:192]
	v_add_f64 v[163:164], v[253:254], -v[163:164]
	v_mul_f64 v[253:254], v[197:198], s[16:17]
	v_mul_f64 v[249:250], v[179:180], s[14:15]
	buffer_store_dword v163, off, s[44:47], 0 offset:296 ; 4-byte Folded Spill
	s_nop 0
	buffer_store_dword v164, off, s[44:47], 0 offset:300 ; 4-byte Folded Spill
	v_add_f64 v[161:162], v[253:254], -v[161:162]
	v_mul_f64 v[253:254], v[173:174], s[22:23]
	v_add_f64 v[205:206], v[249:250], -v[205:206]
	v_mul_f64 v[249:250], v[185:186], s[14:15]
	v_add_f64 v[191:192], v[251:252], v[191:192]
	v_mul_f64 v[251:252], v[179:180], s[22:23]
	v_add_f64 v[155:156], v[253:254], -v[155:156]
	v_mul_f64 v[253:254], v[187:188], s[2:3]
	v_add_f64 v[151:152], v[151:152], v[249:250]
	v_mul_f64 v[249:250], v[183:184], s[4:5]
	v_add_f64 v[191:192], v[193:194], v[191:192]
	;; [unrolled: 2-line block ×3, first 2 shown]
	v_add_f64 v[159:160], v[253:254], -v[159:160]
	v_mul_f64 v[253:254], v[167:168], s[0:1]
	v_add_f64 v[147:148], v[147:148], v[249:250]
	v_add_f64 v[151:152], v[78:79], v[151:152]
	;; [unrolled: 1-line block ×3, first 2 shown]
	v_mul_f64 v[193:194], v[195:196], s[0:1]
	v_mul_f64 v[249:250], v[173:174], s[0:1]
	v_add_f64 v[165:166], v[165:166], v[191:192]
	v_mul_f64 v[191:192], v[173:174], s[4:5]
	v_add_f64 v[153:154], v[253:254], -v[153:154]
	v_mul_f64 v[253:254], v[227:228], s[22:23]
	v_add_f64 v[147:148], v[147:148], v[151:152]
	v_mul_f64 v[151:152], v[167:168], s[4:5]
	v_add_f64 v[141:142], v[141:142], v[193:194]
	;; [unrolled: 2-line block ×3, first 2 shown]
	v_mul_f64 v[155:156], v[181:182], s[2:3]
	v_add_f64 v[137:138], v[151:152], -v[137:138]
	v_mul_f64 v[151:152], v[179:180], s[2:3]
	v_add_f64 v[133:134], v[193:194], -v[133:134]
	v_mul_f64 v[193:194], v[183:184], s[16:17]
	v_add_f64 v[153:154], v[205:206], v[153:154]
	v_add_f64 v[149:150], v[149:150], v[155:156]
	v_mul_f64 v[155:156], v[173:174], s[14:15]
	v_mul_f64 v[205:206], v[185:186], s[0:1]
	v_add_f64 v[135:136], v[151:152], -v[135:136]
	v_mul_f64 v[151:152], v[167:168], s[2:3]
	v_add_f64 v[153:154], v[159:160], v[153:154]
	v_mul_f64 v[159:160], v[185:186], s[2:3]
	v_add_f64 v[145:146], v[155:156], -v[145:146]
	v_add_f64 v[147:148], v[149:150], v[147:148]
	v_mul_f64 v[149:150], v[185:186], s[4:5]
	v_mul_f64 v[185:186], v[185:186], s[16:17]
	v_mul_f64 v[155:156], v[173:174], s[2:3]
	v_mul_f64 v[173:174], v[173:174], s[16:17]
	v_add_f64 v[163:164], v[161:162], v[153:154]
	v_mul_f64 v[161:162], v[227:228], s[16:17]
	v_add_f64 v[145:146], v[76:77], v[145:146]
	v_add_f64 v[143:144], v[143:144], v[147:148]
	v_mul_f64 v[147:148], v[167:168], s[16:17]
	v_add_f64 v[112:113], v[112:113], v[185:186]
	v_mul_f64 v[185:186], v[183:184], s[22:23]
	;; [unrolled: 2-line block ×3, first 2 shown]
	v_add_f64 v[139:140], v[139:140], v[161:162]
	v_add_f64 v[137:138], v[137:138], v[145:146]
	v_mul_f64 v[145:146], v[183:184], s[2:3]
	v_mul_f64 v[161:162], v[197:198], s[0:1]
	v_mul_f64 v[183:184], v[183:184], s[14:15]
	v_add_f64 v[141:142], v[141:142], v[143:144]
	v_mul_f64 v[143:144], v[181:182], s[0:1]
	v_add_f64 v[112:113], v[78:79], v[112:113]
	v_add_f64 v[120:121], v[120:121], v[185:186]
	;; [unrolled: 1-line block ×3, first 2 shown]
	v_mul_f64 v[137:138], v[167:168], s[22:23]
	v_add_f64 v[131:132], v[161:162], -v[131:132]
	v_mul_f64 v[161:162], v[225:226], s[16:17]
	v_add_f64 v[108:109], v[108:109], v[183:184]
	v_add_f64 v[122:123], v[122:123], v[143:144]
	v_mul_f64 v[167:168], v[167:168], s[14:15]
	v_add_f64 v[143:144], v[173:174], -v[175:176]
	v_add_f64 v[133:134], v[133:134], v[135:136]
	v_mul_f64 v[135:136], v[179:180], s[4:5]
	v_mul_f64 v[173:174], v[179:180], s[16:17]
	v_add_f64 v[161:162], v[161:162], -v[114:115]
	v_mul_f64 v[114:115], v[189:190], s[4:5]
	v_add_f64 v[108:109], v[108:109], v[112:113]
	v_mul_f64 v[112:113], v[227:228], s[2:3]
	v_mul_f64 v[179:180], v[179:180], s[0:1]
	v_add_f64 v[143:144], v[76:77], v[143:144]
	v_mul_f64 v[183:184], v[181:182], s[4:5]
	v_add_f64 v[153:154], v[131:132], v[133:134]
	;; [unrolled: 2-line block ×4, first 2 shown]
	v_add_f64 v[112:113], v[110:111], v[112:113]
	v_add_f64 v[110:111], v[167:168], -v[171:172]
	v_add_f64 v[124:125], v[179:180], -v[124:125]
	v_mul_f64 v[122:123], v[187:188], s[16:17]
	v_mul_f64 v[167:168], v[187:188], s[14:15]
	;; [unrolled: 1-line block ×3, first 2 shown]
	v_add_f64 v[104:105], v[104:105], v[114:115]
	v_add_f64 v[106:107], v[106:107], v[108:109]
	v_mul_f64 v[114:115], v[187:188], s[4:5]
	v_add_f64 v[110:111], v[110:111], v[143:144]
	v_mul_f64 v[108:109], v[187:188], s[0:1]
	v_mul_f64 v[187:188], v[197:198], s[22:23]
	;; [unrolled: 1-line block ×5, first 2 shown]
	v_add_f64 v[104:105], v[104:105], v[106:107]
	v_add_f64 v[106:107], v[114:115], -v[177:178]
	v_mul_f64 v[114:115], v[225:226], s[2:3]
	v_add_f64 v[110:111], v[124:125], v[110:111]
	v_mul_f64 v[189:190], v[195:196], s[14:15]
	v_mul_f64 v[124:125], v[195:196], s[4:5]
	v_add_f64 v[126:127], v[187:188], -v[126:127]
	v_mul_f64 v[187:188], v[195:196], s[2:3]
	v_add_f64 v[116:117], v[78:79], v[116:117]
	v_mov_b32_e32 v131, v202
	v_add_f64 v[169:170], v[114:115], -v[169:170]
	v_add_f64 v[114:115], v[112:113], v[104:105]
	v_add_f64 v[112:113], v[76:77], v[0:1]
	buffer_load_dword v0, off, s[44:47], 0 offset:168 ; 4-byte Folded Reload
	buffer_load_dword v1, off, s[44:47], 0 offset:172 ; 4-byte Folded Reload
	v_add_f64 v[195:196], v[106:107], v[110:111]
	v_add_f64 v[106:107], v[118:119], v[165:166]
	;; [unrolled: 1-line block ×4, first 2 shown]
	v_mov_b32_e32 v132, v203
	v_mov_b32_e32 v203, v201
	;; [unrolled: 1-line block ×3, first 2 shown]
	v_mul_f64 v[200:201], v[227:228], s[0:1]
	v_add_f64 v[139:140], v[126:127], v[195:196]
	v_mul_f64 v[227:228], v[227:228], s[14:15]
	v_mul_f64 v[185:186], v[225:226], s[0:1]
	;; [unrolled: 1-line block ×6, first 2 shown]
	v_add_f64 v[104:105], v[78:79], v[6:7]
	v_add_f64 v[135:136], v[135:136], -v[12:13]
	v_add_f64 v[112:113], v[112:113], v[247:248]
	v_add_f64 v[145:146], v[8:9], v[145:146]
	v_add_f64 v[122:123], v[122:123], -v[16:17]
	v_add_f64 v[149:150], v[149:150], -v[24:25]
	v_add_f64 v[104:105], v[104:105], v[2:3]
	v_add_f64 v[112:113], v[112:113], v[243:244]
	;; [unrolled: 1-line block ×14, first 2 shown]
	s_waitcnt vmcnt(0)
	v_add_f64 v[118:119], v[0:1], v[159:160]
	buffer_load_dword v0, off, s[44:47], 0 offset:256 ; 4-byte Folded Reload
	buffer_load_dword v1, off, s[44:47], 0 offset:260 ; 4-byte Folded Reload
	v_add_f64 v[104:105], v[104:105], v[213:214]
	v_add_f64 v[112:113], v[112:113], v[4:5]
	;; [unrolled: 1-line block ×6, first 2 shown]
	s_waitcnt vmcnt(0)
	v_add_f64 v[126:127], v[0:1], v[175:176]
	buffer_load_dword v0, off, s[44:47], 0 offset:224 ; 4-byte Folded Reload
	buffer_load_dword v1, off, s[44:47], 0 offset:228 ; 4-byte Folded Reload
	v_add_f64 v[116:117], v[126:127], v[116:117]
	s_waitcnt vmcnt(0)
	v_add_f64 v[141:142], v[191:192], -v[0:1]
	buffer_load_dword v0, off, s[44:47], 0 offset:176 ; 4-byte Folded Reload
	buffer_load_dword v1, off, s[44:47], 0 offset:180 ; 4-byte Folded Reload
	v_add_f64 v[141:142], v[76:77], v[141:142]
	s_waitcnt vmcnt(0)
	v_add_f64 v[120:121], v[0:1], v[193:194]
	buffer_load_dword v0, off, s[44:47], 0 offset:264 ; 4-byte Folded Reload
	buffer_load_dword v1, off, s[44:47], 0 offset:268 ; 4-byte Folded Reload
	v_add_f64 v[118:119], v[120:121], v[118:119]
	s_waitcnt vmcnt(0)
	v_add_f64 v[143:144], v[0:1], v[143:144]
	buffer_load_dword v0, off, s[44:47], 0 offset:216 ; 4-byte Folded Reload
	buffer_load_dword v1, off, s[44:47], 0 offset:220 ; 4-byte Folded Reload
	v_add_f64 v[116:117], v[143:144], v[116:117]
	s_waitcnt vmcnt(0)
	v_add_f64 v[137:138], v[137:138], -v[0:1]
	buffer_load_dword v0, off, s[44:47], 0 offset:184 ; 4-byte Folded Reload
	buffer_load_dword v1, off, s[44:47], 0 offset:188 ; 4-byte Folded Reload
	v_add_f64 v[137:138], v[137:138], v[141:142]
	s_waitcnt vmcnt(0)
	v_add_f64 v[126:127], v[0:1], v[133:134]
	buffer_load_dword v0, off, s[44:47], 0 offset:280 ; 4-byte Folded Reload
	buffer_load_dword v1, off, s[44:47], 0 offset:284 ; 4-byte Folded Reload
	v_add_f64 v[118:119], v[126:127], v[118:119]
	;; [unrolled: 15-line block ×3, first 2 shown]
	v_add_f64 v[141:142], v[14:15], v[205:206]
	v_add_f64 v[78:79], v[78:79], v[141:142]
	v_add_f64 v[141:142], v[151:152], -v[241:242]
	v_add_f64 v[151:152], v[18:19], v[183:184]
	v_add_f64 v[78:79], v[145:146], v[78:79]
	;; [unrolled: 1-line block ×5, first 2 shown]
	v_add_f64 v[145:146], v[179:180], -v[20:21]
	s_waitcnt vmcnt(0)
	v_add_f64 v[126:127], v[0:1], v[227:228]
	buffer_load_dword v0, off, s[44:47], 0 offset:240 ; 4-byte Folded Reload
	buffer_load_dword v1, off, s[44:47], 0 offset:244 ; 4-byte Folded Reload
	s_waitcnt vmcnt(0)
	v_add_f64 v[108:109], v[108:109], -v[0:1]
	buffer_load_dword v0, off, s[44:47], 0 offset:200 ; 4-byte Folded Reload
	buffer_load_dword v1, off, s[44:47], 0 offset:204 ; 4-byte Folded Reload
	v_add_f64 v[108:109], v[108:109], v[133:134]
	s_waitcnt vmcnt(0)
	v_add_f64 v[120:121], v[0:1], v[124:125]
	buffer_load_dword v0, off, s[44:47], 0 offset:272 ; 4-byte Folded Reload
	buffer_load_dword v1, off, s[44:47], 0 offset:276 ; 4-byte Folded Reload
	v_add_f64 v[118:119], v[120:121], v[118:119]
	v_add_f64 v[120:121], v[249:250], -v[239:240]
	v_add_f64 v[120:121], v[76:77], v[120:121]
	v_add_f64 v[120:121], v[141:142], v[120:121]
	;; [unrolled: 1-line block ×8, first 2 shown]
	s_waitcnt vmcnt(0)
	v_add_f64 v[137:138], v[225:226], -v[0:1]
	buffer_load_dword v0, off, s[44:47], 0 offset:248 ; 4-byte Folded Reload
	buffer_load_dword v1, off, s[44:47], 0 offset:252 ; 4-byte Folded Reload
	s_waitcnt vmcnt(0)
	v_add_f64 v[124:125], v[197:198], -v[0:1]
	buffer_load_dword v0, off, s[44:47], 0 offset:208 ; 4-byte Folded Reload
	buffer_load_dword v1, off, s[44:47], 0 offset:212 ; 4-byte Folded Reload
	v_add_f64 v[108:109], v[124:125], v[108:109]
	v_add_f64 v[124:125], v[149:150], v[145:146]
	s_waitcnt vmcnt(0)
	v_add_f64 v[133:134], v[0:1], v[200:201]
	buffer_load_dword v0, off, s[44:47], 0 offset:120 ; 4-byte Folded Reload
	buffer_load_dword v1, off, s[44:47], 0 offset:124 ; 4-byte Folded Reload
	v_add_f64 v[118:119], v[133:134], v[118:119]
	s_waitcnt vmcnt(0)
	v_add_f64 v[143:144], v[155:156], -v[0:1]
	buffer_load_dword v0, off, s[44:47], 0 offset:128 ; 4-byte Folded Reload
	buffer_load_dword v1, off, s[44:47], 0 offset:132 ; 4-byte Folded Reload
	v_add_f64 v[76:77], v[76:77], v[143:144]
	s_waitcnt vmcnt(0)
	v_add_f64 v[147:148], v[147:148], -v[0:1]
	;; [unrolled: 5-line block ×3, first 2 shown]
	buffer_load_dword v0, off, s[44:47], 0 offset:144 ; 4-byte Folded Reload
	buffer_load_dword v1, off, s[44:47], 0 offset:148 ; 4-byte Folded Reload
	v_add_f64 v[76:77], v[143:144], v[76:77]
	v_add_f64 v[143:144], v[26:27], v[189:190]
	;; [unrolled: 1-line block ×4, first 2 shown]
	s_waitcnt vmcnt(0)
	v_add_f64 v[141:142], v[167:168], -v[0:1]
	buffer_load_dword v0, off, s[44:47], 0 offset:160 ; 4-byte Folded Reload
	buffer_load_dword v1, off, s[44:47], 0 offset:164 ; 4-byte Folded Reload
	v_add_f64 v[76:77], v[141:142], v[76:77]
	s_waitcnt vmcnt(0)
	v_add_f64 v[135:136], v[177:178], -v[0:1]
	buffer_load_dword v0, off, s[44:47], 0 offset:152 ; 4-byte Folded Reload
	buffer_load_dword v1, off, s[44:47], 0 offset:156 ; 4-byte Folded Reload
	v_add_f64 v[76:77], v[135:136], v[76:77]
	;; [unrolled: 5-line block ×3, first 2 shown]
	v_add_f64 v[76:77], v[137:138], v[108:109]
	v_add_f64 v[108:109], v[161:162], v[153:154]
	s_waitcnt vmcnt(0)
	v_add_f64 v[147:148], v[0:1], v[253:254]
	buffer_load_dword v0, off, s[44:47], 0 offset:296 ; 4-byte Folded Reload
	buffer_load_dword v1, off, s[44:47], 0 offset:300 ; 4-byte Folded Reload
	ds_write_b128 v255, v[120:123]
	v_lshl_add_u32 v120, v199, 4, v204
	v_add_f64 v[126:127], v[147:148], v[143:144]
	s_waitcnt vmcnt(0)
	v_add_f64 v[104:105], v[0:1], v[163:164]
	ds_write_b128 v120, v[124:127] offset:112
	ds_write_b128 v120, v[116:119] offset:224
	;; [unrolled: 1-line block ×12, first 2 shown]
.LBB0_5:
	s_or_b64 exec, exec, s[18:19]
	s_waitcnt vmcnt(0) lgkmcnt(0)
	s_barrier
	global_load_dwordx4 v[76:79], v[129:130], off offset:1456
	s_add_u32 s0, s12, 0x5b0
	s_addc_u32 s1, s13, 0
	global_load_dwordx4 v[104:107], v157, s[0:1] offset:208
	global_load_dwordx4 v[108:111], v157, s[0:1] offset:416
	;; [unrolled: 1-line block ×6, first 2 shown]
	ds_read_b128 v[129:132], v255
	ds_read_b128 v[133:136], v255 offset:208
	ds_read_b128 v[137:140], v255 offset:416
	;; [unrolled: 1-line block ×6, first 2 shown]
	s_mov_b32 s2, 0x37e14327
	s_mov_b32 s0, 0x36b3c0b5
	;; [unrolled: 1-line block ×16, first 2 shown]
	s_waitcnt vmcnt(5) lgkmcnt(5)
	v_mul_f64 v[161:162], v[135:136], v[106:107]
	v_mul_f64 v[106:107], v[133:134], v[106:107]
	;; [unrolled: 1-line block ×4, first 2 shown]
	s_waitcnt vmcnt(4) lgkmcnt(4)
	v_mul_f64 v[163:164], v[139:140], v[110:111]
	v_mul_f64 v[110:111], v[137:138], v[110:111]
	s_waitcnt vmcnt(3) lgkmcnt(3)
	v_mul_f64 v[165:166], v[143:144], v[114:115]
	v_mul_f64 v[114:115], v[141:142], v[114:115]
	;; [unrolled: 3-line block ×5, first 2 shown]
	v_fma_f64 v[129:130], v[129:130], v[76:77], -v[159:160]
	v_fma_f64 v[131:132], v[131:132], v[76:77], v[78:79]
	v_fma_f64 v[76:77], v[133:134], v[104:105], -v[161:162]
	v_fma_f64 v[78:79], v[135:136], v[104:105], v[106:107]
	;; [unrolled: 2-line block ×7, first 2 shown]
	ds_write_b128 v255, v[129:132]
	ds_write_b128 v255, v[76:79] offset:208
	ds_write_b128 v255, v[104:107] offset:416
	;; [unrolled: 1-line block ×6, first 2 shown]
	s_waitcnt lgkmcnt(0)
	s_barrier
	ds_read_b128 v[76:79], v255
	ds_read_b128 v[104:107], v255 offset:208
	ds_read_b128 v[108:111], v255 offset:1248
	;; [unrolled: 1-line block ×6, first 2 shown]
	s_waitcnt lgkmcnt(4)
	v_add_f64 v[129:130], v[104:105], v[108:109]
	v_add_f64 v[131:132], v[106:107], v[110:111]
	v_add_f64 v[104:105], v[104:105], -v[108:109]
	v_add_f64 v[106:107], v[106:107], -v[110:111]
	s_waitcnt lgkmcnt(0)
	v_add_f64 v[108:109], v[112:113], v[124:125]
	v_add_f64 v[110:111], v[114:115], v[126:127]
	v_add_f64 v[112:113], v[112:113], -v[124:125]
	v_add_f64 v[114:115], v[114:115], -v[126:127]
	v_add_f64 v[124:125], v[116:117], v[120:121]
	v_add_f64 v[126:127], v[118:119], v[122:123]
	v_add_f64 v[116:117], v[120:121], -v[116:117]
	v_add_f64 v[118:119], v[122:123], -v[118:119]
	v_add_f64 v[120:121], v[108:109], v[129:130]
	v_add_f64 v[122:123], v[110:111], v[131:132]
	v_add_f64 v[133:134], v[108:109], -v[129:130]
	v_add_f64 v[135:136], v[110:111], -v[131:132]
	v_add_f64 v[129:130], v[129:130], -v[124:125]
	v_add_f64 v[131:132], v[131:132], -v[126:127]
	;; [unrolled: 1-line block ×4, first 2 shown]
	v_add_f64 v[137:138], v[116:117], v[112:113]
	v_add_f64 v[139:140], v[118:119], v[114:115]
	v_add_f64 v[141:142], v[116:117], -v[112:113]
	v_add_f64 v[143:144], v[118:119], -v[114:115]
	;; [unrolled: 1-line block ×4, first 2 shown]
	v_add_f64 v[120:121], v[124:125], v[120:121]
	v_add_f64 v[122:123], v[126:127], v[122:123]
	v_add_f64 v[116:117], v[104:105], -v[116:117]
	v_add_f64 v[118:119], v[106:107], -v[118:119]
	v_add_f64 v[104:105], v[137:138], v[104:105]
	v_add_f64 v[106:107], v[139:140], v[106:107]
	v_mul_f64 v[124:125], v[129:130], s[2:3]
	v_mul_f64 v[126:127], v[131:132], s[2:3]
	;; [unrolled: 1-line block ×8, first 2 shown]
	v_add_f64 v[76:77], v[76:77], v[120:121]
	v_add_f64 v[78:79], v[78:79], v[122:123]
	v_fma_f64 v[129:130], v[133:134], s[16:17], -v[129:130]
	v_fma_f64 v[131:132], v[135:136], s[16:17], -v[131:132]
	s_mov_b32 s17, 0xbfe77f67
	v_fma_f64 v[145:146], v[116:117], s[18:19], v[137:138]
	v_fma_f64 v[147:148], v[118:119], s[18:19], v[139:140]
	s_mov_b32 s19, 0x3fd5d0dc
	v_fma_f64 v[108:109], v[108:109], s[0:1], v[124:125]
	v_fma_f64 v[110:111], v[110:111], s[0:1], v[126:127]
	v_fma_f64 v[112:113], v[112:113], s[4:5], -v[137:138]
	v_fma_f64 v[114:115], v[114:115], s[4:5], -v[139:140]
	v_fma_f64 v[120:121], v[120:121], s[12:13], v[76:77]
	v_fma_f64 v[122:123], v[122:123], s[12:13], v[78:79]
	v_fma_f64 v[124:125], v[133:134], s[16:17], -v[124:125]
	v_fma_f64 v[126:127], v[135:136], s[16:17], -v[126:127]
	v_fma_f64 v[116:117], v[116:117], s[18:19], -v[141:142]
	v_fma_f64 v[118:119], v[118:119], s[18:19], -v[143:144]
	v_fma_f64 v[133:134], v[104:105], s[20:21], v[145:146]
	v_fma_f64 v[139:140], v[104:105], s[20:21], v[112:113]
	v_add_f64 v[135:136], v[108:109], v[120:121]
	v_add_f64 v[137:138], v[110:111], v[122:123]
	;; [unrolled: 1-line block ×5, first 2 shown]
	v_fma_f64 v[126:127], v[106:107], s[20:21], v[147:148]
	v_fma_f64 v[141:142], v[106:107], s[20:21], v[118:119]
	;; [unrolled: 1-line block ×4, first 2 shown]
	v_add_f64 v[118:119], v[131:132], v[122:123]
	v_add_f64 v[106:107], v[137:138], -v[133:134]
	s_barrier
	v_add_f64 v[104:105], v[135:136], v[126:127]
	v_add_f64 v[108:109], v[120:121], v[141:142]
	v_add_f64 v[110:111], v[124:125], -v[143:144]
	v_add_f64 v[112:113], v[129:130], -v[116:117]
	v_add_f64 v[114:115], v[139:140], v[118:119]
	v_add_f64 v[116:117], v[129:130], v[116:117]
	v_add_f64 v[118:119], v[118:119], -v[139:140]
	v_add_f64 v[120:121], v[120:121], -v[141:142]
	v_add_f64 v[122:123], v[143:144], v[124:125]
	v_add_f64 v[124:125], v[135:136], -v[126:127]
	v_add_f64 v[126:127], v[133:134], v[137:138]
	ds_write_b128 v158, v[76:79]
	ds_write_b128 v158, v[104:107] offset:16
	ds_write_b128 v158, v[108:111] offset:32
	;; [unrolled: 1-line block ×6, first 2 shown]
	s_waitcnt lgkmcnt(0)
	s_barrier
	s_and_saveexec_b64 s[0:1], vcc
	s_cbranch_execz .LBB0_7
; %bb.6:
	ds_read_b128 v[76:79], v255
	ds_read_b128 v[104:107], v255 offset:112
	ds_read_b128 v[108:111], v255 offset:224
	;; [unrolled: 1-line block ×12, first 2 shown]
.LBB0_7:
	s_or_b64 exec, exec, s[0:1]
	s_and_saveexec_b64 s[0:1], vcc
	s_cbranch_execz .LBB0_9
; %bb.8:
	s_waitcnt lgkmcnt(6)
	v_mul_f64 v[129:130], v[70:71], v[126:127]
	s_waitcnt lgkmcnt(4)
	v_mul_f64 v[135:136], v[74:75], v[98:99]
	v_mul_f64 v[137:138], v[70:71], v[124:125]
	;; [unrolled: 1-line block ×5, first 2 shown]
	s_mov_b32 s16, 0x4bc48dbf
	s_mov_b32 s17, 0xbfcea1e5
	v_fma_f64 v[70:71], v[68:69], v[124:125], v[129:130]
	v_mul_f64 v[129:130], v[62:63], v[120:121]
	v_fma_f64 v[62:63], v[72:73], v[96:97], v[135:136]
	v_mul_f64 v[96:97], v[74:75], v[96:97]
	v_fma_f64 v[74:75], v[68:69], v[126:127], -v[137:138]
	s_waitcnt lgkmcnt(3)
	v_mul_f64 v[126:127], v[58:59], v[94:95]
	v_mul_f64 v[68:69], v[42:43], v[118:119]
	v_fma_f64 v[66:67], v[64:65], v[100:101], v[131:132]
	v_fma_f64 v[100:101], v[60:61], v[120:121], v[133:134]
	v_mul_f64 v[131:132], v[58:59], v[92:93]
	s_waitcnt lgkmcnt(0)
	v_mul_f64 v[133:134], v[46:47], v[82:83]
	v_fma_f64 v[96:97], v[72:73], v[98:99], -v[96:97]
	v_fma_f64 v[64:65], v[64:65], v[102:103], -v[139:140]
	v_fma_f64 v[72:73], v[56:57], v[92:93], v[126:127]
	v_mul_f64 v[126:127], v[38:39], v[114:115]
	v_fma_f64 v[98:99], v[40:41], v[116:117], v[68:69]
	v_mul_f64 v[116:117], v[42:43], v[116:117]
	v_mul_f64 v[38:39], v[38:39], v[112:113]
	v_fma_f64 v[120:121], v[60:61], v[122:123], -v[129:130]
	v_mul_f64 v[129:130], v[54:55], v[90:91]
	s_mov_b32 s14, 0x93053d00
	s_mov_b32 s19, 0x3fddbe06
	v_fma_f64 v[58:59], v[36:37], v[112:113], v[126:127]
	v_mul_f64 v[126:127], v[34:35], v[106:107]
	v_fma_f64 v[92:93], v[40:41], v[118:119], -v[116:117]
	v_mul_f64 v[116:117], v[30:31], v[110:111]
	v_mul_f64 v[118:119], v[50:51], v[86:87]
	v_fma_f64 v[40:41], v[44:45], v[80:81], v[133:134]
	v_mul_f64 v[34:35], v[34:35], v[104:105]
	v_mul_f64 v[80:81], v[46:47], v[80:81]
	;; [unrolled: 1-line block ×3, first 2 shown]
	v_fma_f64 v[112:113], v[32:33], v[104:105], v[126:127]
	v_mul_f64 v[50:51], v[50:51], v[84:85]
	v_fma_f64 v[104:105], v[28:29], v[108:109], v[116:117]
	v_fma_f64 v[46:47], v[48:49], v[84:85], v[118:119]
	;; [unrolled: 1-line block ×3, first 2 shown]
	v_fma_f64 v[106:107], v[32:33], v[106:107], -v[34:35]
	v_fma_f64 v[44:45], v[44:45], v[82:83], -v[80:81]
	v_mul_f64 v[32:33], v[54:55], v[88:89]
	v_add_f64 v[139:140], v[112:113], -v[40:41]
	v_fma_f64 v[88:89], v[28:29], v[110:111], -v[30:31]
	v_fma_f64 v[48:49], v[48:49], v[86:87], -v[50:51]
	v_add_f64 v[137:138], v[104:105], -v[46:47]
	s_mov_b32 s18, 0x4267c47c
	s_mov_b32 s15, 0xbfef11f4
	v_add_f64 v[80:81], v[106:107], v[44:45]
	v_fma_f64 v[56:57], v[56:57], v[94:95], -v[131:132]
	v_mul_f64 v[28:29], v[139:140], s[16:17]
	v_add_f64 v[94:95], v[58:59], -v[42:43]
	v_fma_f64 v[84:85], v[36:37], v[114:115], -v[38:39]
	v_fma_f64 v[50:51], v[52:53], v[90:91], -v[32:33]
	v_mul_f64 v[30:31], v[137:138], s[18:19]
	v_add_f64 v[52:53], v[88:89], v[48:49]
	v_add_f64 v[110:111], v[106:107], -v[44:45]
	s_mov_b32 s24, 0x24c2f84
	v_fma_f64 v[32:33], v[80:81], s[14:15], v[28:29]
	s_mov_b32 s20, 0xe00740e9
	s_mov_b32 s25, 0xbfe5384d
	;; [unrolled: 1-line block ×3, first 2 shown]
	v_add_f64 v[122:123], v[98:99], -v[72:73]
	v_mul_f64 v[34:35], v[94:95], s[24:25]
	v_add_f64 v[54:55], v[84:85], v[50:51]
	v_fma_f64 v[36:37], v[52:53], s[20:21], v[30:31]
	v_add_f64 v[32:33], v[78:79], v[32:33]
	v_add_f64 v[108:109], v[88:89], -v[48:49]
	v_add_f64 v[90:91], v[112:113], v[40:41]
	v_mul_f64 v[38:39], v[110:111], s[16:17]
	s_mov_b32 s36, 0x42a4c3d2
	s_mov_b32 s22, 0xd0032e0c
	;; [unrolled: 1-line block ×4, first 2 shown]
	v_mul_f64 v[129:130], v[122:123], s[36:37]
	v_add_f64 v[82:83], v[92:93], v[56:57]
	v_fma_f64 v[116:117], v[54:55], s[22:23], v[34:35]
	v_add_f64 v[32:33], v[36:37], v[32:33]
	v_add_f64 v[114:115], v[84:85], -v[50:51]
	v_add_f64 v[86:87], v[104:105], v[46:47]
	v_mul_f64 v[36:37], v[108:109], s[18:19]
	v_fma_f64 v[118:119], v[90:91], s[14:15], -v[38:39]
	v_fma_f64 v[28:29], v[80:81], s[14:15], -v[28:29]
	s_mov_b32 s26, 0x1ea71119
	s_mov_b32 s27, 0x3fe22d96
	v_fma_f64 v[133:134], v[82:83], s[26:27], v[129:130]
	v_add_f64 v[32:33], v[116:117], v[32:33]
	v_add_f64 v[131:132], v[92:93], -v[56:57]
	v_add_f64 v[126:127], v[58:59], v[42:43]
	v_mul_f64 v[147:148], v[114:115], s[24:25]
	v_fma_f64 v[116:117], v[86:87], s[20:21], -v[36:37]
	v_add_f64 v[135:136], v[76:77], v[118:119]
	v_fma_f64 v[30:31], v[52:53], s[20:21], -v[30:31]
	v_add_f64 v[28:29], v[78:79], v[28:29]
	v_add_f64 v[124:125], v[100:101], -v[62:63]
	v_add_f64 v[32:33], v[133:134], v[32:33]
	v_add_f64 v[133:134], v[120:121], -v[96:97]
	v_add_f64 v[118:119], v[98:99], v[72:73]
	v_mul_f64 v[149:150], v[131:132], s[36:37]
	v_fma_f64 v[151:152], v[126:127], s[22:23], -v[147:148]
	v_add_f64 v[153:154], v[116:117], v[135:136]
	v_fma_f64 v[34:35], v[54:55], s[22:23], -v[34:35]
	v_add_f64 v[28:29], v[30:31], v[28:29]
	s_mov_b32 s12, 0x2ef20147
	s_mov_b32 s13, 0xbfedeba7
	v_add_f64 v[102:103], v[70:71], -v[66:67]
	v_mul_f64 v[143:144], v[124:125], s[12:13]
	v_add_f64 v[68:69], v[120:121], v[96:97]
	v_add_f64 v[135:136], v[74:75], -v[64:65]
	v_add_f64 v[116:117], v[100:101], v[62:63]
	v_mul_f64 v[155:156], v[133:134], s[12:13]
	v_fma_f64 v[30:31], v[118:119], s[26:27], -v[149:150]
	v_fma_f64 v[38:39], v[90:91], s[14:15], v[38:39]
	v_add_f64 v[151:152], v[151:152], v[153:154]
	v_fma_f64 v[153:154], v[82:83], s[26:27], -v[129:130]
	v_add_f64 v[28:29], v[34:35], v[28:29]
	s_mov_b32 s28, 0x66966769
	s_mov_b32 s2, 0xb2365da1
	;; [unrolled: 1-line block ×4, first 2 shown]
	v_add_f64 v[60:61], v[74:75], v[64:65]
	v_mul_f64 v[141:142], v[102:103], s[28:29]
	v_fma_f64 v[145:146], v[68:69], s[2:3], v[143:144]
	v_add_f64 v[129:130], v[70:71], v[66:67]
	v_mul_f64 v[157:158], v[135:136], s[28:29]
	v_fma_f64 v[34:35], v[116:117], s[2:3], -v[155:156]
	v_fma_f64 v[36:37], v[86:87], s[20:21], v[36:37]
	v_add_f64 v[38:39], v[76:77], v[38:39]
	v_add_f64 v[30:31], v[30:31], v[151:152]
	v_fma_f64 v[143:144], v[68:69], s[2:3], -v[143:144]
	v_add_f64 v[28:29], v[153:154], v[28:29]
	s_mov_b32 s4, 0xebaa3ed8
	s_mov_b32 s5, 0x3fbedb7d
	v_fma_f64 v[151:152], v[60:61], s[4:5], v[141:142]
	v_add_f64 v[32:33], v[145:146], v[32:33]
	v_fma_f64 v[145:146], v[129:130], s[4:5], -v[157:158]
	v_fma_f64 v[147:148], v[126:127], s[22:23], v[147:148]
	v_add_f64 v[36:37], v[36:37], v[38:39]
	v_add_f64 v[34:35], v[34:35], v[30:31]
	v_fma_f64 v[38:39], v[60:61], s[4:5], -v[141:142]
	v_add_f64 v[141:142], v[143:144], v[28:29]
	v_mul_f64 v[143:144], v[139:140], s[24:25]
	v_fma_f64 v[149:150], v[118:119], s[26:27], v[149:150]
	s_mov_b32 s31, 0xbfea55e2
	s_mov_b32 s30, s36
	v_add_f64 v[36:37], v[147:148], v[36:37]
	v_add_f64 v[28:29], v[145:146], v[34:35]
	;; [unrolled: 1-line block ×4, first 2 shown]
	v_mul_f64 v[38:39], v[137:138], s[28:29]
	v_fma_f64 v[141:142], v[80:81], s[22:23], v[143:144]
	v_fma_f64 v[143:144], v[80:81], s[22:23], -v[143:144]
	v_mul_f64 v[147:148], v[110:111], s[24:25]
	v_add_f64 v[36:37], v[149:150], v[36:37]
	v_mul_f64 v[149:150], v[94:95], s[30:31]
	s_mov_b32 s41, 0x3fcea1e5
	s_mov_b32 s40, s16
	v_fma_f64 v[151:152], v[52:53], s[4:5], v[38:39]
	v_add_f64 v[141:142], v[78:79], v[141:142]
	v_fma_f64 v[38:39], v[52:53], s[4:5], -v[38:39]
	v_add_f64 v[143:144], v[78:79], v[143:144]
	v_fma_f64 v[32:33], v[129:130], s[4:5], v[157:158]
	v_fma_f64 v[145:146], v[116:117], s[2:3], v[155:156]
	v_mul_f64 v[153:154], v[108:109], s[28:29]
	v_fma_f64 v[155:156], v[90:91], s[22:23], -v[147:148]
	v_mul_f64 v[157:158], v[122:123], s[40:41]
	v_fma_f64 v[159:160], v[54:55], s[26:27], v[149:150]
	v_add_f64 v[141:142], v[151:152], v[141:142]
	v_fma_f64 v[149:150], v[54:55], s[26:27], -v[149:150]
	v_add_f64 v[38:39], v[38:39], v[143:144]
	v_mul_f64 v[151:152], v[124:125], s[18:19]
	v_mul_f64 v[161:162], v[114:115], s[30:31]
	v_fma_f64 v[163:164], v[86:87], s[4:5], -v[153:154]
	v_add_f64 v[155:156], v[76:77], v[155:156]
	v_fma_f64 v[165:166], v[82:83], s[14:15], v[157:158]
	v_add_f64 v[141:142], v[159:160], v[141:142]
	v_add_f64 v[36:37], v[145:146], v[36:37]
	v_fma_f64 v[157:158], v[82:83], s[14:15], -v[157:158]
	v_add_f64 v[38:39], v[149:150], v[38:39]
	v_fma_f64 v[147:148], v[90:91], s[22:23], v[147:148]
	v_mul_f64 v[159:160], v[102:103], s[12:13]
	v_mul_f64 v[167:168], v[131:132], s[40:41]
	v_fma_f64 v[169:170], v[126:127], s[26:27], -v[161:162]
	v_add_f64 v[155:156], v[163:164], v[155:156]
	v_fma_f64 v[163:164], v[68:69], s[20:21], v[151:152]
	v_add_f64 v[141:142], v[165:166], v[141:142]
	v_add_f64 v[32:33], v[32:33], v[36:37]
	v_fma_f64 v[36:37], v[68:69], s[20:21], -v[151:152]
	v_add_f64 v[151:152], v[157:158], v[38:39]
	v_fma_f64 v[153:154], v[86:87], s[4:5], v[153:154]
	v_add_f64 v[147:148], v[76:77], v[147:148]
	v_mul_f64 v[143:144], v[133:134], s[18:19]
	v_fma_f64 v[145:146], v[118:119], s[14:15], -v[167:168]
	v_add_f64 v[155:156], v[169:170], v[155:156]
	v_fma_f64 v[165:166], v[60:61], s[2:3], v[159:160]
	v_add_f64 v[141:142], v[163:164], v[141:142]
	v_mul_f64 v[157:158], v[139:140], s[12:13]
	v_add_f64 v[151:152], v[36:37], v[151:152]
	v_fma_f64 v[36:37], v[126:127], s[26:27], v[161:162]
	v_add_f64 v[147:148], v[153:154], v[147:148]
	v_mul_f64 v[153:154], v[110:111], s[12:13]
	s_mov_b32 s39, 0x3fe5384d
	s_mov_b32 s38, s24
	v_fma_f64 v[163:164], v[116:117], s[20:21], -v[143:144]
	v_add_f64 v[145:146], v[145:146], v[155:156]
	v_add_f64 v[38:39], v[165:166], v[141:142]
	v_fma_f64 v[155:156], v[60:61], s[2:3], -v[159:160]
	v_mul_f64 v[159:160], v[137:138], s[38:39]
	v_fma_f64 v[161:162], v[80:81], s[2:3], v[157:158]
	v_add_f64 v[36:37], v[36:37], v[147:148]
	v_mul_f64 v[165:166], v[108:109], s[38:39]
	v_fma_f64 v[147:148], v[90:91], s[2:3], -v[153:154]
	v_fma_f64 v[157:158], v[80:81], s[2:3], -v[157:158]
	v_add_f64 v[145:146], v[163:164], v[145:146]
	v_fma_f64 v[163:164], v[118:119], s[14:15], v[167:168]
	v_mul_f64 v[167:168], v[94:95], s[18:19]
	v_fma_f64 v[169:170], v[52:53], s[22:23], v[159:160]
	v_add_f64 v[161:162], v[78:79], v[161:162]
	v_mul_f64 v[171:172], v[114:115], s[18:19]
	v_fma_f64 v[173:174], v[86:87], s[22:23], -v[165:166]
	v_add_f64 v[147:148], v[76:77], v[147:148]
	v_fma_f64 v[159:160], v[52:53], s[22:23], -v[159:160]
	v_add_f64 v[157:158], v[78:79], v[157:158]
	s_mov_b32 s35, 0xbfefc445
	s_mov_b32 s34, s28
	v_mul_f64 v[175:176], v[122:123], s[34:35]
	v_fma_f64 v[177:178], v[54:55], s[20:21], v[167:168]
	v_add_f64 v[161:162], v[169:170], v[161:162]
	v_add_f64 v[36:37], v[163:164], v[36:37]
	v_mul_f64 v[163:164], v[131:132], s[34:35]
	v_fma_f64 v[169:170], v[126:127], s[20:21], -v[171:172]
	v_add_f64 v[147:148], v[173:174], v[147:148]
	v_fma_f64 v[167:168], v[54:55], s[20:21], -v[167:168]
	v_add_f64 v[157:158], v[159:160], v[157:158]
	v_mul_f64 v[149:150], v[135:136], s[12:13]
	v_fma_f64 v[143:144], v[116:117], s[20:21], v[143:144]
	v_mul_f64 v[173:174], v[124:125], s[40:41]
	v_fma_f64 v[179:180], v[82:83], s[4:5], v[175:176]
	v_add_f64 v[161:162], v[177:178], v[161:162]
	v_mul_f64 v[177:178], v[133:134], s[40:41]
	v_fma_f64 v[181:182], v[118:119], s[4:5], -v[163:164]
	v_add_f64 v[147:148], v[169:170], v[147:148]
	v_fma_f64 v[175:176], v[82:83], s[4:5], -v[175:176]
	v_add_f64 v[157:158], v[167:168], v[157:158]
	v_fma_f64 v[141:142], v[129:130], s[2:3], -v[149:150]
	v_mul_f64 v[169:170], v[102:103], s[36:37]
	v_fma_f64 v[183:184], v[68:69], s[14:15], v[173:174]
	v_add_f64 v[161:162], v[179:180], v[161:162]
	v_mul_f64 v[159:160], v[135:136], s[36:37]
	v_fma_f64 v[179:180], v[116:117], s[14:15], -v[177:178]
	v_add_f64 v[147:148], v[181:182], v[147:148]
	v_fma_f64 v[149:150], v[129:130], s[2:3], v[149:150]
	v_add_f64 v[181:182], v[143:144], v[36:37]
	v_add_f64 v[143:144], v[155:156], v[151:152]
	v_fma_f64 v[151:152], v[90:91], s[2:3], v[153:154]
	v_fma_f64 v[153:154], v[68:69], s[14:15], -v[173:174]
	v_add_f64 v[155:156], v[175:176], v[157:158]
	v_fma_f64 v[185:186], v[60:61], s[26:27], v[169:170]
	v_add_f64 v[161:162], v[183:184], v[161:162]
	v_fma_f64 v[167:168], v[129:130], s[26:27], -v[159:160]
	v_add_f64 v[179:180], v[179:180], v[147:148]
	v_add_f64 v[36:37], v[141:142], v[145:146]
	v_add_f64 v[141:142], v[149:150], v[181:182]
	v_fma_f64 v[149:150], v[86:87], s[22:23], v[165:166]
	v_mul_f64 v[157:158], v[139:140], s[34:35]
	v_add_f64 v[151:152], v[76:77], v[151:152]
	v_add_f64 v[153:154], v[153:154], v[155:156]
	v_fma_f64 v[155:156], v[118:119], s[4:5], v[163:164]
	v_mul_f64 v[163:164], v[110:111], s[34:35]
	v_add_f64 v[147:148], v[185:186], v[161:162]
	v_add_f64 v[145:146], v[167:168], v[179:180]
	v_fma_f64 v[161:162], v[60:61], s[26:27], -v[169:170]
	v_fma_f64 v[165:166], v[126:127], s[20:21], v[171:172]
	v_mul_f64 v[167:168], v[137:138], s[16:17]
	v_fma_f64 v[169:170], v[80:81], s[4:5], v[157:158]
	v_add_f64 v[149:150], v[149:150], v[151:152]
	v_mul_f64 v[171:172], v[108:109], s[16:17]
	v_fma_f64 v[151:152], v[90:91], s[4:5], -v[163:164]
	s_mov_b32 s37, 0x3fedeba7
	s_mov_b32 s36, s12
	v_mul_f64 v[173:174], v[94:95], s[36:37]
	v_fma_f64 v[175:176], v[52:53], s[14:15], v[167:168]
	v_add_f64 v[169:170], v[78:79], v[169:170]
	v_add_f64 v[149:150], v[165:166], v[149:150]
	v_fma_f64 v[165:166], v[116:117], s[14:15], v[177:178]
	v_mul_f64 v[177:178], v[114:115], s[36:37]
	v_fma_f64 v[179:180], v[86:87], s[14:15], -v[171:172]
	v_add_f64 v[151:152], v[76:77], v[151:152]
	v_mul_f64 v[181:182], v[122:123], s[18:19]
	v_fma_f64 v[183:184], v[54:55], s[2:3], v[173:174]
	v_add_f64 v[169:170], v[175:176], v[169:170]
	v_add_f64 v[149:150], v[155:156], v[149:150]
	v_mul_f64 v[175:176], v[131:132], s[18:19]
	v_fma_f64 v[155:156], v[126:127], s[2:3], -v[177:178]
	v_fma_f64 v[157:158], v[80:81], s[4:5], -v[157:158]
	v_add_f64 v[151:152], v[179:180], v[151:152]
	v_mul_f64 v[179:180], v[124:125], s[30:31]
	v_fma_f64 v[185:186], v[82:83], s[20:21], v[181:182]
	v_add_f64 v[169:170], v[183:184], v[169:170]
	v_mul_f64 v[183:184], v[133:134], s[30:31]
	v_fma_f64 v[187:188], v[118:119], s[20:21], -v[175:176]
	v_fma_f64 v[167:168], v[52:53], s[14:15], -v[167:168]
	v_add_f64 v[157:158], v[78:79], v[157:158]
	v_add_f64 v[151:152], v[155:156], v[151:152]
	v_mul_f64 v[189:190], v[102:103], s[24:25]
	v_fma_f64 v[155:156], v[68:69], s[26:27], v[179:180]
	v_add_f64 v[169:170], v[185:186], v[169:170]
	v_mul_f64 v[185:186], v[135:136], s[24:25]
	v_fma_f64 v[191:192], v[116:117], s[26:27], -v[183:184]
	v_fma_f64 v[173:174], v[54:55], s[2:3], -v[173:174]
	v_add_f64 v[157:158], v[167:168], v[157:158]
	v_add_f64 v[151:152], v[187:188], v[151:152]
	v_fma_f64 v[159:160], v[129:130], s[26:27], v[159:160]
	v_add_f64 v[149:150], v[165:166], v[149:150]
	v_fma_f64 v[165:166], v[60:61], s[22:23], v[189:190]
	v_add_f64 v[155:156], v[155:156], v[169:170]
	v_fma_f64 v[167:168], v[129:130], s[22:23], -v[185:186]
	v_fma_f64 v[169:170], v[82:83], s[20:21], -v[181:182]
	v_add_f64 v[157:158], v[173:174], v[157:158]
	v_add_f64 v[173:174], v[191:192], v[151:152]
	;; [unrolled: 1-line block ×4, first 2 shown]
	v_fma_f64 v[159:160], v[90:91], s[4:5], v[163:164]
	v_mul_f64 v[163:164], v[139:140], s[30:31]
	v_add_f64 v[155:156], v[165:166], v[155:156]
	v_fma_f64 v[161:162], v[68:69], s[26:27], -v[179:180]
	v_add_f64 v[157:158], v[169:170], v[157:158]
	v_add_f64 v[153:154], v[167:168], v[173:174]
	v_fma_f64 v[165:166], v[86:87], s[14:15], v[171:172]
	v_mul_f64 v[167:168], v[110:111], s[30:31]
	v_add_f64 v[159:160], v[76:77], v[159:160]
	v_mul_f64 v[171:172], v[137:138], s[12:13]
	v_fma_f64 v[173:174], v[80:81], s[26:27], v[163:164]
	v_add_f64 v[106:107], v[78:79], v[106:107]
	v_add_f64 v[112:113], v[76:77], v[112:113]
	;; [unrolled: 1-line block ×3, first 2 shown]
	v_fma_f64 v[161:162], v[126:127], s[2:3], v[177:178]
	v_mul_f64 v[177:178], v[108:109], s[12:13]
	v_fma_f64 v[179:180], v[90:91], s[26:27], -v[167:168]
	v_add_f64 v[159:160], v[165:166], v[159:160]
	v_mul_f64 v[165:166], v[94:95], s[16:17]
	v_fma_f64 v[181:182], v[52:53], s[2:3], v[171:172]
	v_add_f64 v[173:174], v[78:79], v[173:174]
	v_add_f64 v[88:89], v[106:107], v[88:89]
	;; [unrolled: 1-line block ×3, first 2 shown]
	v_fma_f64 v[169:170], v[60:61], s[22:23], -v[189:190]
	v_mul_f64 v[187:188], v[114:115], s[16:17]
	v_fma_f64 v[189:190], v[86:87], s[2:3], -v[177:178]
	v_add_f64 v[179:180], v[76:77], v[179:180]
	v_add_f64 v[159:160], v[161:162], v[159:160]
	v_mul_f64 v[161:162], v[122:123], s[38:39]
	v_fma_f64 v[191:192], v[54:55], s[14:15], v[165:166]
	v_add_f64 v[173:174], v[181:182], v[173:174]
	v_add_f64 v[84:85], v[88:89], v[84:85]
	;; [unrolled: 1-line block ×3, first 2 shown]
	v_fma_f64 v[163:164], v[80:81], s[26:27], -v[163:164]
	v_fma_f64 v[193:194], v[126:127], s[14:15], -v[187:188]
	v_add_f64 v[179:180], v[189:190], v[179:180]
	v_fma_f64 v[189:190], v[82:83], s[22:23], v[161:162]
	v_fma_f64 v[171:172], v[52:53], s[2:3], -v[171:172]
	v_add_f64 v[173:174], v[191:192], v[173:174]
	v_add_f64 v[84:85], v[84:85], v[92:93]
	;; [unrolled: 1-line block ×4, first 2 shown]
	v_fma_f64 v[167:168], v[90:91], s[26:27], v[167:168]
	v_add_f64 v[179:180], v[193:194], v[179:180]
	v_mul_f64 v[193:194], v[102:103], s[18:19]
	v_fma_f64 v[175:176], v[118:119], s[20:21], v[175:176]
	v_add_f64 v[173:174], v[189:190], v[173:174]
	v_mul_f64 v[189:190], v[135:136], s[18:19]
	s_mov_b32 s19, 0xbfddbe06
	v_mul_f64 v[139:140], v[139:140], s[18:19]
	v_add_f64 v[84:85], v[84:85], v[120:121]
	v_add_f64 v[92:93], v[92:93], v[100:101]
	v_fma_f64 v[165:166], v[54:55], s[14:15], -v[165:166]
	v_add_f64 v[163:164], v[171:172], v[163:164]
	v_fma_f64 v[171:172], v[86:87], s[2:3], v[177:178]
	v_add_f64 v[167:168], v[76:77], v[167:168]
	v_mul_f64 v[100:101], v[110:111], s[18:19]
	v_mul_f64 v[137:138], v[137:138], s[30:31]
	v_fma_f64 v[177:178], v[80:81], s[20:21], v[139:140]
	v_fma_f64 v[80:81], v[80:81], s[20:21], -v[139:140]
	v_add_f64 v[74:75], v[84:85], v[74:75]
	v_add_f64 v[70:71], v[92:93], v[70:71]
	v_fma_f64 v[181:182], v[116:117], s[26:27], v[183:184]
	v_mul_f64 v[183:184], v[131:132], s[38:39]
	v_add_f64 v[159:160], v[175:176], v[159:160]
	v_mul_f64 v[175:176], v[124:125], s[28:29]
	v_fma_f64 v[161:162], v[82:83], s[22:23], -v[161:162]
	v_add_f64 v[163:164], v[165:166], v[163:164]
	v_fma_f64 v[165:166], v[126:127], s[14:15], v[187:188]
	v_add_f64 v[167:168], v[171:172], v[167:168]
	v_mul_f64 v[84:85], v[108:109], s[30:31]
	v_fma_f64 v[92:93], v[90:91], s[20:21], v[100:101]
	v_mul_f64 v[94:95], v[94:95], s[34:35]
	v_fma_f64 v[171:172], v[52:53], s[26:27], v[137:138]
	v_add_f64 v[106:107], v[78:79], v[177:178]
	v_fma_f64 v[52:53], v[52:53], s[26:27], -v[137:138]
	v_add_f64 v[78:79], v[78:79], v[80:81]
	v_add_f64 v[64:65], v[74:75], v[64:65]
	;; [unrolled: 1-line block ×3, first 2 shown]
	v_fma_f64 v[185:186], v[129:130], s[22:23], v[185:186]
	v_mul_f64 v[191:192], v[133:134], s[28:29]
	v_add_f64 v[181:182], v[181:182], v[159:160]
	v_fma_f64 v[197:198], v[68:69], s[4:5], v[175:176]
	v_fma_f64 v[175:176], v[68:69], s[4:5], -v[175:176]
	v_add_f64 v[112:113], v[161:162], v[163:164]
	v_fma_f64 v[161:162], v[118:119], s[22:23], v[183:184]
	v_add_f64 v[163:164], v[165:166], v[167:168]
	v_mul_f64 v[108:109], v[114:115], s[34:35]
	v_fma_f64 v[90:91], v[90:91], s[20:21], -v[100:101]
	v_fma_f64 v[70:71], v[86:87], s[26:27], v[84:85]
	v_add_f64 v[74:75], v[76:77], v[92:93]
	v_fma_f64 v[165:166], v[54:55], s[4:5], v[94:95]
	v_fma_f64 v[54:55], v[54:55], s[4:5], -v[94:95]
	v_add_f64 v[52:53], v[52:53], v[78:79]
	v_add_f64 v[64:65], v[64:65], v[96:97]
	;; [unrolled: 1-line block ×5, first 2 shown]
	v_fma_f64 v[185:186], v[60:61], s[20:21], -v[193:194]
	v_mul_f64 v[122:123], v[122:123], s[12:13]
	v_add_f64 v[88:89], v[171:172], v[106:107]
	v_add_f64 v[104:105], v[175:176], v[112:113]
	v_fma_f64 v[106:107], v[116:117], s[4:5], v[191:192]
	v_add_f64 v[112:113], v[161:162], v[163:164]
	v_mul_f64 v[120:121], v[131:132], s[12:13]
	v_fma_f64 v[80:81], v[86:87], s[26:27], -v[84:85]
	v_add_f64 v[76:77], v[76:77], v[90:91]
	v_fma_f64 v[66:67], v[126:127], s[4:5], v[108:109]
	v_add_f64 v[70:71], v[70:71], v[74:75]
	v_add_f64 v[52:53], v[54:55], v[52:53]
	;; [unrolled: 1-line block ×4, first 2 shown]
	v_mul_f64 v[124:125], v[124:125], s[24:25]
	v_add_f64 v[58:59], v[185:186], v[104:105]
	v_add_f64 v[104:105], v[106:107], v[112:113]
	v_mul_f64 v[112:113], v[133:134], s[24:25]
	v_fma_f64 v[74:75], v[126:127], s[4:5], -v[108:109]
	v_add_f64 v[76:77], v[80:81], v[76:77]
	v_fma_f64 v[78:79], v[82:83], s[2:3], -v[122:123]
	v_fma_f64 v[62:63], v[118:119], s[2:3], v[120:121]
	v_add_f64 v[64:65], v[66:67], v[70:71]
	v_add_f64 v[50:51], v[54:55], v[50:51]
	;; [unrolled: 1-line block ×3, first 2 shown]
	v_fma_f64 v[195:196], v[118:119], s[22:23], -v[183:184]
	v_fma_f64 v[161:162], v[82:83], s[2:3], v[122:123]
	v_add_f64 v[88:89], v[165:166], v[88:89]
	v_mul_f64 v[102:103], v[102:103], s[16:17]
	v_fma_f64 v[106:107], v[68:69], s[22:23], v[124:125]
	v_mul_f64 v[110:111], v[135:136], s[16:17]
	v_fma_f64 v[66:67], v[118:119], s[2:3], -v[120:121]
	v_add_f64 v[70:71], v[74:75], v[76:77]
	v_fma_f64 v[68:69], v[68:69], s[22:23], -v[124:125]
	v_add_f64 v[52:53], v[78:79], v[52:53]
	v_fma_f64 v[54:55], v[116:117], s[22:23], v[112:113]
	v_add_f64 v[56:57], v[62:63], v[64:65]
	v_add_f64 v[48:49], v[50:51], v[48:49]
	;; [unrolled: 1-line block ×3, first 2 shown]
	v_mov_b32_e32 v201, v199
	v_fma_f64 v[199:200], v[116:117], s[4:5], -v[191:192]
	v_add_f64 v[179:180], v[195:196], v[179:180]
	v_add_f64 v[88:89], v[161:162], v[88:89]
	v_fma_f64 v[62:63], v[116:117], s[22:23], -v[112:113]
	v_add_f64 v[64:65], v[66:67], v[70:71]
	v_fma_f64 v[66:67], v[60:61], s[14:15], -v[102:103]
	v_add_f64 v[52:53], v[68:69], v[52:53]
	v_fma_f64 v[50:51], v[129:130], s[14:15], v[110:111]
	v_add_f64 v[54:55], v[54:55], v[56:57]
	v_fma_f64 v[98:99], v[129:130], s[20:21], v[189:190]
	v_add_f64 v[42:43], v[48:49], v[44:45]
	v_add_f64 v[40:41], v[46:47], v[40:41]
	v_fma_f64 v[169:170], v[60:61], s[20:21], v[193:194]
	v_add_f64 v[173:174], v[197:198], v[173:174]
	v_fma_f64 v[181:182], v[129:130], s[20:21], -v[189:190]
	v_add_f64 v[179:180], v[199:200], v[179:180]
	v_fma_f64 v[60:61], v[60:61], s[14:15], v[102:103]
	v_add_f64 v[68:69], v[106:107], v[88:89]
	v_fma_f64 v[70:71], v[129:130], s[14:15], -v[110:111]
	v_add_f64 v[62:63], v[62:63], v[64:65]
	v_add_f64 v[46:47], v[66:67], v[52:53]
	;; [unrolled: 1-line block ×4, first 2 shown]
	v_mov_b32_e32 v199, v201
	ds_write_b128 v255, v[40:43]
	v_lshl_add_u32 v40, v199, 4, v204
	v_add_f64 v[50:51], v[169:170], v[173:174]
	v_add_f64 v[48:49], v[181:182], v[179:180]
	;; [unrolled: 1-line block ×4, first 2 shown]
	ds_write_b128 v40, v[44:47] offset:112
	ds_write_b128 v40, v[56:59] offset:224
	;; [unrolled: 1-line block ×12, first 2 shown]
.LBB0_9:
	s_or_b64 exec, exec, s[0:1]
	s_waitcnt lgkmcnt(0)
	s_barrier
	ds_read_b128 v[28:31], v255
	ds_read_b128 v[32:35], v255 offset:208
	buffer_load_dword v0, off, s[44:47], 0 offset:96 ; 4-byte Folded Reload
	buffer_load_dword v1, off, s[44:47], 0 offset:100 ; 4-byte Folded Reload
	;; [unrolled: 1-line block ×4, first 2 shown]
	v_mad_u64_u32 v[36:37], s[0:1], s10, v128, 0
	s_mul_i32 s2, s9, 0xd0
	s_mul_hi_u32 s3, s8, 0xd0
	s_add_i32 s2, s3, s2
	s_mul_i32 s3, s8, 0xd0
	s_waitcnt vmcnt(0) lgkmcnt(1)
	v_mul_f64 v[38:39], v[2:3], v[30:31]
	v_mul_f64 v[26:27], v[2:3], v[28:29]
	v_fma_f64 v[28:29], v[0:1], v[28:29], v[38:39]
	v_fma_f64 v[26:27], v[0:1], v[30:31], -v[26:27]
	buffer_load_dword v0, off, s[44:47], 0 offset:48 ; 4-byte Folded Reload
	buffer_load_dword v1, off, s[44:47], 0 offset:52 ; 4-byte Folded Reload
	buffer_load_dword v2, off, s[44:47], 0 offset:56 ; 4-byte Folded Reload
	buffer_load_dword v3, off, s[44:47], 0 offset:60 ; 4-byte Folded Reload
	v_mad_u64_u32 v[40:41], s[0:1], s11, v128, v[37:38]
	v_mad_u64_u32 v[41:42], s[0:1], s8, v199, 0
	v_mov_b32_e32 v37, v40
	v_mov_b32_e32 v38, s2
	;; [unrolled: 1-line block ×3, first 2 shown]
	v_mad_u64_u32 v[30:31], s[0:1], s9, v199, v[24:25]
	s_mov_b32 s0, 0x16816817
	s_mov_b32 s1, 0x3f868168
	v_mov_b32_e32 v42, v30
	v_mul_f64 v[24:25], v[28:29], s[0:1]
	v_mul_f64 v[26:27], v[26:27], s[0:1]
	v_lshlrev_b64 v[28:29], 4, v[36:37]
	v_mov_b32_e32 v36, s7
	v_add_co_u32_e32 v37, vcc, s6, v28
	v_addc_co_u32_e32 v36, vcc, v36, v29, vcc
	v_lshlrev_b64 v[28:29], 4, v[41:42]
	s_waitcnt vmcnt(0) lgkmcnt(0)
	v_mul_f64 v[30:31], v[2:3], v[34:35]
	v_mul_f64 v[14:15], v[2:3], v[32:33]
	v_fma_f64 v[30:31], v[0:1], v[32:33], v[30:31]
	v_fma_f64 v[32:33], v[0:1], v[34:35], -v[14:15]
	v_add_co_u32_e32 v34, vcc, v37, v28
	v_addc_co_u32_e32 v35, vcc, v36, v29, vcc
	global_store_dwordx4 v[34:35], v[24:27], off
	ds_read_b128 v[12:15], v255 offset:416
	v_mul_f64 v[24:25], v[30:31], s[0:1]
	ds_read_b128 v[28:31], v255 offset:624
	buffer_load_dword v0, off, s[44:47], 0 offset:64 ; 4-byte Folded Reload
	buffer_load_dword v1, off, s[44:47], 0 offset:68 ; 4-byte Folded Reload
	buffer_load_dword v2, off, s[44:47], 0 offset:72 ; 4-byte Folded Reload
	buffer_load_dword v3, off, s[44:47], 0 offset:76 ; 4-byte Folded Reload
	v_mul_f64 v[26:27], v[32:33], s[0:1]
	v_add_co_u32_e32 v34, vcc, s3, v34
	v_addc_co_u32_e32 v35, vcc, v35, v38, vcc
	s_waitcnt vmcnt(0) lgkmcnt(1)
	v_mul_f64 v[36:37], v[2:3], v[14:15]
	v_mul_f64 v[18:19], v[2:3], v[12:13]
	v_fma_f64 v[12:13], v[0:1], v[12:13], v[36:37]
	v_fma_f64 v[14:15], v[0:1], v[14:15], -v[18:19]
	buffer_load_dword v0, off, s[44:47], 0 offset:16 ; 4-byte Folded Reload
	buffer_load_dword v1, off, s[44:47], 0 offset:20 ; 4-byte Folded Reload
	;; [unrolled: 1-line block ×4, first 2 shown]
	ds_read_b128 v[16:19], v255 offset:832
	global_store_dwordx4 v[34:35], v[24:27], off
	v_mov_b32_e32 v36, s2
	v_mul_f64 v[12:13], v[12:13], s[0:1]
	v_mul_f64 v[14:15], v[14:15], s[0:1]
	s_waitcnt vmcnt(1) lgkmcnt(1)
	v_mul_f64 v[32:33], v[2:3], v[30:31]
	v_mul_f64 v[6:7], v[2:3], v[28:29]
	v_fma_f64 v[24:25], v[0:1], v[28:29], v[32:33]
	v_fma_f64 v[26:27], v[0:1], v[30:31], -v[6:7]
	ds_read_b128 v[4:7], v255 offset:1040
	buffer_load_dword v0, off, s[44:47], 0 offset:80 ; 4-byte Folded Reload
	buffer_load_dword v1, off, s[44:47], 0 offset:84 ; 4-byte Folded Reload
	;; [unrolled: 1-line block ×4, first 2 shown]
	v_add_co_u32_e32 v30, vcc, s3, v34
	v_addc_co_u32_e32 v31, vcc, v35, v36, vcc
	global_store_dwordx4 v[30:31], v[12:15], off
	s_waitcnt vmcnt(1) lgkmcnt(1)
	v_mul_f64 v[28:29], v[2:3], v[18:19]
	v_mul_f64 v[22:23], v[2:3], v[16:17]
	;; [unrolled: 1-line block ×4, first 2 shown]
	v_mov_b32_e32 v26, s2
	v_fma_f64 v[24:25], v[0:1], v[16:17], v[28:29]
	v_fma_f64 v[20:21], v[0:1], v[18:19], -v[22:23]
	ds_read_b128 v[16:19], v255 offset:1248
	buffer_load_dword v0, off, s[44:47], 0  ; 4-byte Folded Reload
	buffer_load_dword v1, off, s[44:47], 0 offset:4 ; 4-byte Folded Reload
	buffer_load_dword v2, off, s[44:47], 0 offset:8 ; 4-byte Folded Reload
	;; [unrolled: 1-line block ×7, first 2 shown]
	v_add_co_u32_e32 v22, vcc, s3, v30
	v_addc_co_u32_e32 v23, vcc, v31, v26, vcc
	global_store_dwordx4 v[22:23], v[12:15], off
	s_waitcnt vmcnt(5) lgkmcnt(1)
	v_mul_f64 v[26:27], v[2:3], v[6:7]
	v_mul_f64 v[2:3], v[2:3], v[4:5]
	s_waitcnt vmcnt(1) lgkmcnt(0)
	v_mul_f64 v[28:29], v[10:11], v[18:19]
	v_mul_f64 v[30:31], v[10:11], v[16:17]
	;; [unrolled: 1-line block ×4, first 2 shown]
	v_mov_b32_e32 v15, s2
	v_add_co_u32_e32 v14, vcc, s3, v22
	v_fma_f64 v[4:5], v[0:1], v[4:5], v[26:27]
	v_fma_f64 v[2:3], v[0:1], v[6:7], -v[2:3]
	v_fma_f64 v[6:7], v[8:9], v[16:17], v[28:29]
	v_fma_f64 v[8:9], v[8:9], v[18:19], -v[30:31]
	v_addc_co_u32_e32 v15, vcc, v23, v15, vcc
	global_store_dwordx4 v[14:15], v[10:13], off
	v_mul_f64 v[0:1], v[4:5], s[0:1]
	v_mul_f64 v[2:3], v[2:3], s[0:1]
	;; [unrolled: 1-line block ×4, first 2 shown]
	v_mov_b32_e32 v10, s2
	v_add_co_u32_e32 v8, vcc, s3, v14
	v_addc_co_u32_e32 v9, vcc, v15, v10, vcc
	global_store_dwordx4 v[8:9], v[0:3], off
	s_nop 0
	v_mov_b32_e32 v1, s2
	v_add_co_u32_e32 v0, vcc, s3, v8
	v_addc_co_u32_e32 v1, vcc, v9, v1, vcc
	global_store_dwordx4 v[0:1], v[4:7], off
.LBB0_10:
	s_endpgm
	.section	.rodata,"a",@progbits
	.p2align	6, 0x0
	.amdhsa_kernel bluestein_single_fwd_len91_dim1_dp_op_CI_CI
		.amdhsa_group_segment_fixed_size 27664
		.amdhsa_private_segment_fixed_size 308
		.amdhsa_kernarg_size 104
		.amdhsa_user_sgpr_count 6
		.amdhsa_user_sgpr_private_segment_buffer 1
		.amdhsa_user_sgpr_dispatch_ptr 0
		.amdhsa_user_sgpr_queue_ptr 0
		.amdhsa_user_sgpr_kernarg_segment_ptr 1
		.amdhsa_user_sgpr_dispatch_id 0
		.amdhsa_user_sgpr_flat_scratch_init 0
		.amdhsa_user_sgpr_private_segment_size 0
		.amdhsa_uses_dynamic_stack 0
		.amdhsa_system_sgpr_private_segment_wavefront_offset 1
		.amdhsa_system_sgpr_workgroup_id_x 1
		.amdhsa_system_sgpr_workgroup_id_y 0
		.amdhsa_system_sgpr_workgroup_id_z 0
		.amdhsa_system_sgpr_workgroup_info 0
		.amdhsa_system_vgpr_workitem_id 0
		.amdhsa_next_free_vgpr 256
		.amdhsa_next_free_sgpr 48
		.amdhsa_reserve_vcc 1
		.amdhsa_reserve_flat_scratch 0
		.amdhsa_float_round_mode_32 0
		.amdhsa_float_round_mode_16_64 0
		.amdhsa_float_denorm_mode_32 3
		.amdhsa_float_denorm_mode_16_64 3
		.amdhsa_dx10_clamp 1
		.amdhsa_ieee_mode 1
		.amdhsa_fp16_overflow 0
		.amdhsa_exception_fp_ieee_invalid_op 0
		.amdhsa_exception_fp_denorm_src 0
		.amdhsa_exception_fp_ieee_div_zero 0
		.amdhsa_exception_fp_ieee_overflow 0
		.amdhsa_exception_fp_ieee_underflow 0
		.amdhsa_exception_fp_ieee_inexact 0
		.amdhsa_exception_int_div_zero 0
	.end_amdhsa_kernel
	.text
.Lfunc_end0:
	.size	bluestein_single_fwd_len91_dim1_dp_op_CI_CI, .Lfunc_end0-bluestein_single_fwd_len91_dim1_dp_op_CI_CI
                                        ; -- End function
	.section	.AMDGPU.csdata,"",@progbits
; Kernel info:
; codeLenInByte = 14304
; NumSgprs: 52
; NumVgprs: 256
; ScratchSize: 308
; MemoryBound: 0
; FloatMode: 240
; IeeeMode: 1
; LDSByteSize: 27664 bytes/workgroup (compile time only)
; SGPRBlocks: 6
; VGPRBlocks: 63
; NumSGPRsForWavesPerEU: 52
; NumVGPRsForWavesPerEU: 256
; Occupancy: 1
; WaveLimiterHint : 1
; COMPUTE_PGM_RSRC2:SCRATCH_EN: 1
; COMPUTE_PGM_RSRC2:USER_SGPR: 6
; COMPUTE_PGM_RSRC2:TRAP_HANDLER: 0
; COMPUTE_PGM_RSRC2:TGID_X_EN: 1
; COMPUTE_PGM_RSRC2:TGID_Y_EN: 0
; COMPUTE_PGM_RSRC2:TGID_Z_EN: 0
; COMPUTE_PGM_RSRC2:TIDIG_COMP_CNT: 0
	.type	__hip_cuid_3f21d343cba0f807,@object ; @__hip_cuid_3f21d343cba0f807
	.section	.bss,"aw",@nobits
	.globl	__hip_cuid_3f21d343cba0f807
__hip_cuid_3f21d343cba0f807:
	.byte	0                               ; 0x0
	.size	__hip_cuid_3f21d343cba0f807, 1

	.ident	"AMD clang version 19.0.0git (https://github.com/RadeonOpenCompute/llvm-project roc-6.4.0 25133 c7fe45cf4b819c5991fe208aaa96edf142730f1d)"
	.section	".note.GNU-stack","",@progbits
	.addrsig
	.addrsig_sym __hip_cuid_3f21d343cba0f807
	.amdgpu_metadata
---
amdhsa.kernels:
  - .args:
      - .actual_access:  read_only
        .address_space:  global
        .offset:         0
        .size:           8
        .value_kind:     global_buffer
      - .actual_access:  read_only
        .address_space:  global
        .offset:         8
        .size:           8
        .value_kind:     global_buffer
      - .actual_access:  read_only
        .address_space:  global
        .offset:         16
        .size:           8
        .value_kind:     global_buffer
      - .actual_access:  read_only
        .address_space:  global
        .offset:         24
        .size:           8
        .value_kind:     global_buffer
      - .actual_access:  read_only
        .address_space:  global
        .offset:         32
        .size:           8
        .value_kind:     global_buffer
      - .offset:         40
        .size:           8
        .value_kind:     by_value
      - .address_space:  global
        .offset:         48
        .size:           8
        .value_kind:     global_buffer
      - .address_space:  global
        .offset:         56
        .size:           8
        .value_kind:     global_buffer
      - .address_space:  global
        .offset:         64
        .size:           8
        .value_kind:     global_buffer
      - .address_space:  global
        .offset:         72
        .size:           8
        .value_kind:     global_buffer
      - .offset:         80
        .size:           4
        .value_kind:     by_value
      - .address_space:  global
        .offset:         88
        .size:           8
        .value_kind:     global_buffer
      - .address_space:  global
        .offset:         96
        .size:           8
        .value_kind:     global_buffer
    .group_segment_fixed_size: 27664
    .kernarg_segment_align: 8
    .kernarg_segment_size: 104
    .language:       OpenCL C
    .language_version:
      - 2
      - 0
    .max_flat_workgroup_size: 247
    .name:           bluestein_single_fwd_len91_dim1_dp_op_CI_CI
    .private_segment_fixed_size: 308
    .sgpr_count:     52
    .sgpr_spill_count: 0
    .symbol:         bluestein_single_fwd_len91_dim1_dp_op_CI_CI.kd
    .uniform_work_group_size: 1
    .uses_dynamic_stack: false
    .vgpr_count:     256
    .vgpr_spill_count: 76
    .wavefront_size: 64
amdhsa.target:   amdgcn-amd-amdhsa--gfx906
amdhsa.version:
  - 1
  - 2
...

	.end_amdgpu_metadata
